;; amdgpu-corpus repo=ROCm/rocFFT kind=compiled arch=gfx1030 opt=O3
	.text
	.amdgcn_target "amdgcn-amd-amdhsa--gfx1030"
	.amdhsa_code_object_version 6
	.protected	fft_rtc_back_len1176_factors_2_2_2_3_7_7_wgs_56_tpt_56_halfLds_dp_ip_CI_sbrr_dirReg ; -- Begin function fft_rtc_back_len1176_factors_2_2_2_3_7_7_wgs_56_tpt_56_halfLds_dp_ip_CI_sbrr_dirReg
	.globl	fft_rtc_back_len1176_factors_2_2_2_3_7_7_wgs_56_tpt_56_halfLds_dp_ip_CI_sbrr_dirReg
	.p2align	8
	.type	fft_rtc_back_len1176_factors_2_2_2_3_7_7_wgs_56_tpt_56_halfLds_dp_ip_CI_sbrr_dirReg,@function
fft_rtc_back_len1176_factors_2_2_2_3_7_7_wgs_56_tpt_56_halfLds_dp_ip_CI_sbrr_dirReg: ; @fft_rtc_back_len1176_factors_2_2_2_3_7_7_wgs_56_tpt_56_halfLds_dp_ip_CI_sbrr_dirReg
; %bb.0:
	s_clause 0x2
	s_load_dwordx2 s[14:15], s[4:5], 0x18
	s_load_dwordx4 s[8:11], s[4:5], 0x0
	s_load_dwordx2 s[12:13], s[4:5], 0x50
	v_mul_u32_u24_e32 v1, 0x493, v0
	v_mov_b32_e32 v3, 0
	v_add_nc_u32_sdwa v5, s6, v1 dst_sel:DWORD dst_unused:UNUSED_PAD src0_sel:DWORD src1_sel:WORD_1
	v_mov_b32_e32 v1, 0
	v_mov_b32_e32 v6, v3
	v_mov_b32_e32 v2, 0
	s_waitcnt lgkmcnt(0)
	s_load_dwordx2 s[2:3], s[14:15], 0x0
	v_cmp_lt_u64_e64 s0, s[10:11], 2
	s_and_b32 vcc_lo, exec_lo, s0
	s_cbranch_vccnz .LBB0_8
; %bb.1:
	s_load_dwordx2 s[0:1], s[4:5], 0x10
	v_mov_b32_e32 v1, 0
	s_add_u32 s6, s14, 8
	v_mov_b32_e32 v2, 0
	s_addc_u32 s7, s15, 0
	s_mov_b64 s[18:19], 1
	s_waitcnt lgkmcnt(0)
	s_add_u32 s16, s0, 8
	s_addc_u32 s17, s1, 0
.LBB0_2:                                ; =>This Inner Loop Header: Depth=1
	s_load_dwordx2 s[20:21], s[16:17], 0x0
                                        ; implicit-def: $vgpr7_vgpr8
	s_mov_b32 s0, exec_lo
	s_waitcnt lgkmcnt(0)
	v_or_b32_e32 v4, s21, v6
	v_cmpx_ne_u64_e32 0, v[3:4]
	s_xor_b32 s1, exec_lo, s0
	s_cbranch_execz .LBB0_4
; %bb.3:                                ;   in Loop: Header=BB0_2 Depth=1
	v_cvt_f32_u32_e32 v4, s20
	v_cvt_f32_u32_e32 v7, s21
	s_sub_u32 s0, 0, s20
	s_subb_u32 s22, 0, s21
	v_fmac_f32_e32 v4, 0x4f800000, v7
	v_rcp_f32_e32 v4, v4
	v_mul_f32_e32 v4, 0x5f7ffffc, v4
	v_mul_f32_e32 v7, 0x2f800000, v4
	v_trunc_f32_e32 v7, v7
	v_fmac_f32_e32 v4, 0xcf800000, v7
	v_cvt_u32_f32_e32 v7, v7
	v_cvt_u32_f32_e32 v4, v4
	v_mul_lo_u32 v8, s0, v7
	v_mul_hi_u32 v9, s0, v4
	v_mul_lo_u32 v10, s22, v4
	v_add_nc_u32_e32 v8, v9, v8
	v_mul_lo_u32 v9, s0, v4
	v_add_nc_u32_e32 v8, v8, v10
	v_mul_hi_u32 v10, v4, v9
	v_mul_lo_u32 v11, v4, v8
	v_mul_hi_u32 v12, v4, v8
	v_mul_hi_u32 v13, v7, v9
	v_mul_lo_u32 v9, v7, v9
	v_mul_hi_u32 v14, v7, v8
	v_mul_lo_u32 v8, v7, v8
	v_add_co_u32 v10, vcc_lo, v10, v11
	v_add_co_ci_u32_e32 v11, vcc_lo, 0, v12, vcc_lo
	v_add_co_u32 v9, vcc_lo, v10, v9
	v_add_co_ci_u32_e32 v9, vcc_lo, v11, v13, vcc_lo
	v_add_co_ci_u32_e32 v10, vcc_lo, 0, v14, vcc_lo
	v_add_co_u32 v8, vcc_lo, v9, v8
	v_add_co_ci_u32_e32 v9, vcc_lo, 0, v10, vcc_lo
	v_add_co_u32 v4, vcc_lo, v4, v8
	v_add_co_ci_u32_e32 v7, vcc_lo, v7, v9, vcc_lo
	v_mul_hi_u32 v8, s0, v4
	v_mul_lo_u32 v10, s22, v4
	v_mul_lo_u32 v9, s0, v7
	v_add_nc_u32_e32 v8, v8, v9
	v_mul_lo_u32 v9, s0, v4
	v_add_nc_u32_e32 v8, v8, v10
	v_mul_hi_u32 v10, v4, v9
	v_mul_lo_u32 v11, v4, v8
	v_mul_hi_u32 v12, v4, v8
	v_mul_hi_u32 v13, v7, v9
	v_mul_lo_u32 v9, v7, v9
	v_mul_hi_u32 v14, v7, v8
	v_mul_lo_u32 v8, v7, v8
	v_add_co_u32 v10, vcc_lo, v10, v11
	v_add_co_ci_u32_e32 v11, vcc_lo, 0, v12, vcc_lo
	v_add_co_u32 v9, vcc_lo, v10, v9
	v_add_co_ci_u32_e32 v9, vcc_lo, v11, v13, vcc_lo
	v_add_co_ci_u32_e32 v10, vcc_lo, 0, v14, vcc_lo
	v_add_co_u32 v8, vcc_lo, v9, v8
	v_add_co_ci_u32_e32 v9, vcc_lo, 0, v10, vcc_lo
	v_add_co_u32 v4, vcc_lo, v4, v8
	v_add_co_ci_u32_e32 v11, vcc_lo, v7, v9, vcc_lo
	v_mul_hi_u32 v13, v5, v4
	v_mad_u64_u32 v[9:10], null, v6, v4, 0
	v_mad_u64_u32 v[7:8], null, v5, v11, 0
	;; [unrolled: 1-line block ×3, first 2 shown]
	v_add_co_u32 v4, vcc_lo, v13, v7
	v_add_co_ci_u32_e32 v7, vcc_lo, 0, v8, vcc_lo
	v_add_co_u32 v4, vcc_lo, v4, v9
	v_add_co_ci_u32_e32 v4, vcc_lo, v7, v10, vcc_lo
	v_add_co_ci_u32_e32 v7, vcc_lo, 0, v12, vcc_lo
	v_add_co_u32 v4, vcc_lo, v4, v11
	v_add_co_ci_u32_e32 v9, vcc_lo, 0, v7, vcc_lo
	v_mul_lo_u32 v10, s21, v4
	v_mad_u64_u32 v[7:8], null, s20, v4, 0
	v_mul_lo_u32 v11, s20, v9
	v_sub_co_u32 v7, vcc_lo, v5, v7
	v_add3_u32 v8, v8, v11, v10
	v_sub_nc_u32_e32 v10, v6, v8
	v_subrev_co_ci_u32_e64 v10, s0, s21, v10, vcc_lo
	v_add_co_u32 v11, s0, v4, 2
	v_add_co_ci_u32_e64 v12, s0, 0, v9, s0
	v_sub_co_u32 v13, s0, v7, s20
	v_sub_co_ci_u32_e32 v8, vcc_lo, v6, v8, vcc_lo
	v_subrev_co_ci_u32_e64 v10, s0, 0, v10, s0
	v_cmp_le_u32_e32 vcc_lo, s20, v13
	v_cmp_eq_u32_e64 s0, s21, v8
	v_cndmask_b32_e64 v13, 0, -1, vcc_lo
	v_cmp_le_u32_e32 vcc_lo, s21, v10
	v_cndmask_b32_e64 v14, 0, -1, vcc_lo
	v_cmp_le_u32_e32 vcc_lo, s20, v7
	;; [unrolled: 2-line block ×3, first 2 shown]
	v_cndmask_b32_e64 v15, 0, -1, vcc_lo
	v_cmp_eq_u32_e32 vcc_lo, s21, v10
	v_cndmask_b32_e64 v7, v15, v7, s0
	v_cndmask_b32_e32 v10, v14, v13, vcc_lo
	v_add_co_u32 v13, vcc_lo, v4, 1
	v_add_co_ci_u32_e32 v14, vcc_lo, 0, v9, vcc_lo
	v_cmp_ne_u32_e32 vcc_lo, 0, v10
	v_cndmask_b32_e32 v8, v14, v12, vcc_lo
	v_cndmask_b32_e32 v10, v13, v11, vcc_lo
	v_cmp_ne_u32_e32 vcc_lo, 0, v7
	v_cndmask_b32_e32 v8, v9, v8, vcc_lo
	v_cndmask_b32_e32 v7, v4, v10, vcc_lo
.LBB0_4:                                ;   in Loop: Header=BB0_2 Depth=1
	s_andn2_saveexec_b32 s0, s1
	s_cbranch_execz .LBB0_6
; %bb.5:                                ;   in Loop: Header=BB0_2 Depth=1
	v_cvt_f32_u32_e32 v4, s20
	s_sub_i32 s1, 0, s20
	v_rcp_iflag_f32_e32 v4, v4
	v_mul_f32_e32 v4, 0x4f7ffffe, v4
	v_cvt_u32_f32_e32 v4, v4
	v_mul_lo_u32 v7, s1, v4
	v_mul_hi_u32 v7, v4, v7
	v_add_nc_u32_e32 v4, v4, v7
	v_mul_hi_u32 v4, v5, v4
	v_mul_lo_u32 v7, v4, s20
	v_add_nc_u32_e32 v8, 1, v4
	v_sub_nc_u32_e32 v7, v5, v7
	v_subrev_nc_u32_e32 v9, s20, v7
	v_cmp_le_u32_e32 vcc_lo, s20, v7
	v_cndmask_b32_e32 v7, v7, v9, vcc_lo
	v_cndmask_b32_e32 v4, v4, v8, vcc_lo
	v_cmp_le_u32_e32 vcc_lo, s20, v7
	v_add_nc_u32_e32 v8, 1, v4
	v_cndmask_b32_e32 v7, v4, v8, vcc_lo
	v_mov_b32_e32 v8, v3
.LBB0_6:                                ;   in Loop: Header=BB0_2 Depth=1
	s_or_b32 exec_lo, exec_lo, s0
	s_load_dwordx2 s[0:1], s[6:7], 0x0
	v_mul_lo_u32 v4, v8, s20
	v_mul_lo_u32 v11, v7, s21
	v_mad_u64_u32 v[9:10], null, v7, s20, 0
	s_add_u32 s18, s18, 1
	s_addc_u32 s19, s19, 0
	s_add_u32 s6, s6, 8
	s_addc_u32 s7, s7, 0
	;; [unrolled: 2-line block ×3, first 2 shown]
	v_add3_u32 v4, v10, v11, v4
	v_sub_co_u32 v5, vcc_lo, v5, v9
	v_sub_co_ci_u32_e32 v4, vcc_lo, v6, v4, vcc_lo
	s_waitcnt lgkmcnt(0)
	v_mul_lo_u32 v6, s1, v5
	v_mul_lo_u32 v4, s0, v4
	v_mad_u64_u32 v[1:2], null, s0, v5, v[1:2]
	v_cmp_ge_u64_e64 s0, s[18:19], s[10:11]
	s_and_b32 vcc_lo, exec_lo, s0
	v_add3_u32 v2, v6, v2, v4
	s_cbranch_vccnz .LBB0_9
; %bb.7:                                ;   in Loop: Header=BB0_2 Depth=1
	v_mov_b32_e32 v5, v7
	v_mov_b32_e32 v6, v8
	s_branch .LBB0_2
.LBB0_8:
	v_mov_b32_e32 v8, v6
	v_mov_b32_e32 v7, v5
.LBB0_9:
	s_lshl_b64 s[0:1], s[10:11], 3
	v_mul_hi_u32 v3, 0x4924925, v0
	s_add_u32 s0, s14, s0
	s_addc_u32 s1, s15, s1
	s_load_dwordx2 s[4:5], s[4:5], 0x20
	s_load_dwordx2 s[0:1], s[0:1], 0x0
                                        ; implicit-def: $vgpr127
                                        ; implicit-def: $vgpr128
                                        ; implicit-def: $vgpr138
                                        ; implicit-def: $vgpr137
                                        ; implicit-def: $vgpr136
                                        ; implicit-def: $vgpr114
                                        ; implicit-def: $vgpr113
	v_mul_u32_u24_e32 v3, 56, v3
	v_sub_nc_u32_e32 v119, v0, v3
	v_add_nc_u32_e32 v120, 56, v119
	v_add_nc_u32_e32 v118, 0x70, v119
	;; [unrolled: 1-line block ×5, first 2 shown]
	s_waitcnt lgkmcnt(0)
	v_cmp_gt_u64_e32 vcc_lo, s[4:5], v[7:8]
	v_mul_lo_u32 v3, s0, v8
	v_mul_lo_u32 v4, s1, v7
	v_mad_u64_u32 v[0:1], null, s0, v7, v[1:2]
	v_cmp_le_u64_e64 s0, s[4:5], v[7:8]
	v_add_nc_u32_e32 v124, 0x150, v119
	v_add_nc_u32_e32 v122, 0x188, v119
	v_or_b32_e32 v112, 0x1c0, v119
	v_add_nc_u32_e32 v125, 0x1f8, v119
	v_add3_u32 v1, v4, v1, v3
	s_and_saveexec_b32 s1, s0
	s_xor_b32 s0, exec_lo, s1
; %bb.10:
	v_add_nc_u32_e32 v127, 56, v119
	v_add_nc_u32_e32 v128, 0x70, v119
	;; [unrolled: 1-line block ×7, first 2 shown]
	v_or_b32_e32 v112, 0x1c0, v119
	v_add_nc_u32_e32 v113, 0x1f8, v119
; %bb.11:
	s_or_saveexec_b32 s1, s0
	v_lshlrev_b64 v[110:111], 4, v[0:1]
                                        ; implicit-def: $vgpr80_vgpr81
                                        ; implicit-def: $vgpr60_vgpr61
                                        ; implicit-def: $vgpr42_vgpr43
                                        ; implicit-def: $vgpr6_vgpr7
                                        ; implicit-def: $vgpr46_vgpr47
                                        ; implicit-def: $vgpr10_vgpr11
                                        ; implicit-def: $vgpr50_vgpr51
                                        ; implicit-def: $vgpr14_vgpr15
                                        ; implicit-def: $vgpr56_vgpr57
                                        ; implicit-def: $vgpr18_vgpr19
                                        ; implicit-def: $vgpr64_vgpr65
                                        ; implicit-def: $vgpr22_vgpr23
                                        ; implicit-def: $vgpr68_vgpr69
                                        ; implicit-def: $vgpr26_vgpr27
                                        ; implicit-def: $vgpr76_vgpr77
                                        ; implicit-def: $vgpr30_vgpr31
                                        ; implicit-def: $vgpr84_vgpr85
                                        ; implicit-def: $vgpr34_vgpr35
                                        ; implicit-def: $vgpr88_vgpr89
                                        ; implicit-def: $vgpr38_vgpr39
                                        ; implicit-def: $vgpr72_vgpr73
                                        ; implicit-def: $vgpr2_vgpr3
	s_xor_b32 exec_lo, exec_lo, s1
	s_cbranch_execz .LBB0_15
; %bb.12:
	v_add_nc_u32_e32 v8, 0x24c, v119
	v_mad_u64_u32 v[0:1], null, s2, v119, 0
	v_mad_u64_u32 v[4:5], null, s2, v120, 0
	;; [unrolled: 1-line block ×3, first 2 shown]
	v_add_nc_u32_e32 v12, 0x284, v119
	v_add_co_u32 v52, s0, s12, v110
	v_add_co_ci_u32_e64 v53, s0, s13, v111, s0
	v_mad_u64_u32 v[10:11], null, s2, v118, 0
	v_mad_u64_u32 v[6:7], null, s3, v119, v[1:2]
	v_mov_b32_e32 v1, v3
	v_mov_b32_e32 v3, v5
	v_add_nc_u32_e32 v18, 0x2bc, v119
	v_add_nc_u32_e32 v21, 0x2f4, v119
	s_mov_b32 s4, exec_lo
	v_mad_u64_u32 v[7:8], null, s3, v8, v[1:2]
	v_mov_b32_e32 v1, v6
	v_mad_u64_u32 v[8:9], null, s2, v12, 0
	v_mad_u64_u32 v[5:6], null, s3, v120, v[3:4]
	v_lshlrev_b64 v[0:1], 4, v[0:1]
	v_mov_b32_e32 v3, v7
	v_mad_u64_u32 v[14:15], null, s2, v18, 0
	v_mov_b32_e32 v6, v9
	v_lshlrev_b64 v[2:3], 4, v[2:3]
	v_add_co_u32 v0, s0, v52, v0
	v_add_co_ci_u32_e64 v1, s0, v53, v1, s0
	v_mad_u64_u32 v[6:7], null, s3, v12, v[6:7]
	v_add_co_u32 v12, s0, v52, v2
	v_add_co_ci_u32_e64 v13, s0, v53, v3, s0
	v_lshlrev_b64 v[3:4], 4, v[4:5]
	v_mov_b32_e32 v2, v11
	v_mov_b32_e32 v9, v6
	v_mad_u64_u32 v[16:17], null, s3, v118, v[2:3]
	v_add_co_u32 v5, s0, v52, v3
	v_add_co_ci_u32_e64 v6, s0, v53, v4, s0
	v_lshlrev_b64 v[2:3], 4, v[8:9]
	v_mov_b32_e32 v4, v15
	v_mad_u64_u32 v[7:8], null, s2, v123, 0
	v_mov_b32_e32 v11, v16
	v_mad_u64_u32 v[15:16], null, s3, v18, v[4:5]
	v_add_co_u32 v16, s0, v52, v2
	v_add_co_ci_u32_e64 v17, s0, v53, v3, s0
	v_lshlrev_b64 v[3:4], 4, v[10:11]
	v_mov_b32_e32 v2, v8
	v_mad_u64_u32 v[9:10], null, s2, v21, 0
	v_mad_u64_u32 v[18:19], null, s3, v123, v[2:3]
	v_add_co_u32 v19, s0, v52, v3
	v_add_co_ci_u32_e64 v20, s0, v53, v4, s0
	v_mov_b32_e32 v4, v10
	v_lshlrev_b64 v[2:3], 4, v[14:15]
	v_mad_u64_u32 v[14:15], null, s2, v121, 0
	v_mov_b32_e32 v8, v18
	v_mad_u64_u32 v[10:11], null, s3, v21, v[4:5]
	v_add_nc_u32_e32 v11, 0x32c, v119
	v_add_co_u32 v21, s0, v52, v2
	v_add_co_ci_u32_e64 v22, s0, v53, v3, s0
	v_lshlrev_b64 v[3:4], 4, v[7:8]
	v_mov_b32_e32 v2, v15
	v_mad_u64_u32 v[7:8], null, s2, v11, 0
	v_add_nc_u32_e32 v18, 0x364, v119
	v_mad_u64_u32 v[23:24], null, s3, v121, v[2:3]
	v_add_co_u32 v24, s0, v52, v3
	v_add_co_ci_u32_e64 v25, s0, v53, v4, s0
	v_mov_b32_e32 v4, v8
	v_lshlrev_b64 v[2:3], 4, v[9:10]
	v_mov_b32_e32 v15, v23
	v_mad_u64_u32 v[9:10], null, s2, v135, 0
	v_mad_u64_u32 v[26:27], null, s3, v11, v[4:5]
	v_add_co_u32 v40, s0, v52, v2
	v_add_co_ci_u32_e64 v41, s0, v53, v3, s0
	v_lshlrev_b64 v[3:4], 4, v[14:15]
	v_mad_u64_u32 v[14:15], null, s2, v18, 0
	v_mov_b32_e32 v2, v10
	v_mov_b32_e32 v8, v26
	v_add_nc_u32_e32 v23, 0x444, v119
	v_add_co_u32 v26, s0, v52, v3
	v_mad_u64_u32 v[10:11], null, s3, v135, v[2:3]
	v_add_co_ci_u32_e64 v27, s0, v53, v4, s0
	v_lshlrev_b64 v[2:3], 4, v[7:8]
	v_mov_b32_e32 v4, v15
	v_mad_u64_u32 v[7:8], null, s2, v124, 0
	v_add_nc_u32_e32 v11, 0x39c, v119
	v_mad_u64_u32 v[28:29], null, s3, v18, v[4:5]
	v_add_co_u32 v42, s0, v52, v2
	v_mov_b32_e32 v4, v8
	v_add_co_ci_u32_e64 v43, s0, v53, v3, s0
	v_lshlrev_b64 v[2:3], 4, v[9:10]
	v_mov_b32_e32 v15, v28
	v_mad_u64_u32 v[9:10], null, s2, v11, 0
	v_mad_u64_u32 v[28:29], null, s3, v124, v[4:5]
	v_add_co_u32 v44, s0, v52, v2
	v_add_co_ci_u32_e64 v45, s0, v53, v3, s0
	v_lshlrev_b64 v[3:4], 4, v[14:15]
	v_mad_u64_u32 v[29:30], null, s2, v122, 0
	v_mov_b32_e32 v2, v10
	v_mov_b32_e32 v8, v28
	v_add_nc_u32_e32 v18, 0x3d4, v119
	v_add_co_u32 v46, s0, v52, v3
	v_mad_u64_u32 v[10:11], null, s3, v11, v[2:3]
	v_add_co_ci_u32_e64 v47, s0, v53, v4, s0
	v_lshlrev_b64 v[3:4], 4, v[7:8]
	v_mov_b32_e32 v2, v30
	v_mad_u64_u32 v[14:15], null, s2, v18, 0
	v_mad_u64_u32 v[7:8], null, s3, v122, v[2:3]
	v_add_co_u32 v48, s0, v52, v3
	v_add_co_ci_u32_e64 v49, s0, v53, v4, s0
	v_lshlrev_b64 v[3:4], 4, v[9:10]
	v_mov_b32_e32 v2, v15
	v_mov_b32_e32 v30, v7
	v_mad_u64_u32 v[7:8], null, s2, v112, 0
	v_mad_u64_u32 v[9:10], null, s3, v18, v[2:3]
	v_add_nc_u32_e32 v18, 0x40c, v119
	v_add_co_u32 v10, s0, v52, v3
	v_lshlrev_b64 v[2:3], 4, v[29:30]
	v_add_co_ci_u32_e64 v11, s0, v53, v4, s0
	v_mov_b32_e32 v4, v8
	v_mov_b32_e32 v15, v9
	v_mad_u64_u32 v[28:29], null, s2, v18, 0
	v_mad_u64_u32 v[30:31], null, s2, v125, 0
	v_add_co_u32 v50, s0, v52, v2
	v_mad_u64_u32 v[8:9], null, s3, v112, v[4:5]
	v_add_co_ci_u32_e64 v51, s0, v53, v3, s0
	v_lshlrev_b64 v[2:3], 4, v[14:15]
	v_mad_u64_u32 v[14:15], null, s2, v23, 0
	v_mov_b32_e32 v4, v29
	v_mov_b32_e32 v9, v31
	v_add_co_u32 v58, s0, v52, v2
	v_mad_u64_u32 v[31:32], null, s3, v18, v[4:5]
	v_add_co_ci_u32_e64 v59, s0, v53, v3, s0
	v_lshlrev_b64 v[3:4], 4, v[7:8]
	v_mov_b32_e32 v2, v15
	v_mad_u64_u32 v[32:33], null, s3, v125, v[9:10]
	v_mov_b32_e32 v29, v31
	v_mad_u64_u32 v[7:8], null, s3, v23, v[2:3]
	v_add_co_u32 v8, s0, v52, v3
	v_mov_b32_e32 v31, v32
	v_lshlrev_b64 v[28:29], 4, v[28:29]
	s_clause 0x1
	global_load_dwordx4 v[0:3], v[0:1], off
	global_load_dwordx4 v[70:73], v[12:13], off
	v_add_co_ci_u32_e64 v9, s0, v53, v4, s0
	v_mov_b32_e32 v15, v7
	v_lshlrev_b64 v[12:13], 4, v[30:31]
	v_add_co_u32 v60, s0, v52, v28
	v_add_co_ci_u32_e64 v61, s0, v53, v29, s0
	v_lshlrev_b64 v[14:15], 4, v[14:15]
	v_add_co_u32 v78, s0, v52, v12
	v_add_co_ci_u32_e64 v79, s0, v53, v13, s0
	v_add_co_u32 v80, s0, v52, v14
	v_add_co_ci_u32_e64 v81, s0, v53, v15, s0
	s_clause 0x11
	global_load_dwordx4 v[36:39], v[5:6], off
	global_load_dwordx4 v[86:89], v[16:17], off
	;; [unrolled: 1-line block ×18, first 2 shown]
                                        ; implicit-def: $vgpr58_vgpr59
                                        ; implicit-def: $vgpr78_vgpr79
	v_cmpx_gt_u32_e32 28, v119
	s_cbranch_execz .LBB0_14
; %bb.13:
	v_add_nc_u32_e32 v78, 0x230, v119
	v_add_nc_u32_e32 v80, 0x47c, v119
	v_mad_u64_u32 v[58:59], null, s2, v78, 0
	v_mad_u64_u32 v[60:61], null, s2, v80, 0
	;; [unrolled: 1-line block ×3, first 2 shown]
	s_waitcnt vmcnt(8)
	v_mad_u64_u32 v[79:80], null, s3, v80, v[61:62]
	v_mov_b32_e32 v59, v78
	v_mov_b32_e32 v61, v79
	v_lshlrev_b64 v[58:59], 4, v[58:59]
	v_lshlrev_b64 v[60:61], 4, v[60:61]
	v_add_co_u32 v58, s0, v52, v58
	v_add_co_ci_u32_e64 v59, s0, v53, v59, s0
	v_add_co_u32 v52, s0, v52, v60
	v_add_co_ci_u32_e64 v53, s0, v53, v61, s0
	s_clause 0x1
	global_load_dwordx4 v[58:61], v[58:59], off
	global_load_dwordx4 v[78:81], v[52:53], off
.LBB0_14:
	s_or_b32 exec_lo, exec_lo, s4
	v_mov_b32_e32 v113, v125
	v_mov_b32_e32 v114, v122
	;; [unrolled: 1-line block ×7, first 2 shown]
.LBB0_15:
	s_or_b32 exec_lo, exec_lo, s1
	s_waitcnt vmcnt(18)
	v_add_f64 v[92:93], v[0:1], -v[70:71]
	s_waitcnt vmcnt(6)
	v_add_f64 v[141:142], v[16:17], -v[54:55]
	s_waitcnt vmcnt(0)
	v_add_f64 v[54:55], v[58:59], -v[78:79]
	v_add_f64 v[96:97], v[36:37], -v[86:87]
	v_add_f64 v[100:101], v[32:33], -v[82:83]
	;; [unrolled: 1-line block ×8, first 2 shown]
	v_add_nc_u32_e32 v126, 0x230, v119
	v_lshl_add_u32 v74, v119, 4, 0
	v_lshl_add_u32 v49, v127, 4, 0
	;; [unrolled: 1-line block ×7, first 2 shown]
	v_cmp_gt_u32_e64 s0, 28, v119
	v_fma_f64 v[90:91], v[0:1], 2.0, -v[92:93]
	v_fma_f64 v[139:140], v[16:17], 2.0, -v[141:142]
	v_fma_f64 v[52:53], v[58:59], 2.0, -v[54:55]
	v_fma_f64 v[94:95], v[36:37], 2.0, -v[96:97]
	v_fma_f64 v[98:99], v[32:33], 2.0, -v[100:101]
	v_fma_f64 v[102:103], v[28:29], 2.0, -v[104:105]
	v_fma_f64 v[106:107], v[24:25], 2.0, -v[108:109]
	v_fma_f64 v[129:130], v[20:21], 2.0, -v[131:132]
	v_fma_f64 v[143:144], v[12:13], 2.0, -v[145:146]
	v_fma_f64 v[147:148], v[8:9], 2.0, -v[149:150]
	v_fma_f64 v[151:152], v[4:5], 2.0, -v[153:154]
	v_lshl_add_u32 v28, v128, 4, 0
	v_lshl_add_u32 v37, v138, 4, 0
	;; [unrolled: 1-line block ×4, first 2 shown]
	ds_write_b128 v74, v[90:93]
	ds_write_b128 v49, v[94:97]
	ds_write_b128 v28, v[98:101]
	ds_write_b128 v37, v[102:105]
	ds_write_b128 v36, v[106:109]
	ds_write_b128 v41, v[129:132]
	ds_write_b128 v40, v[139:142]
	ds_write_b128 v48, v[143:146]
	ds_write_b128 v45, v[147:150]
	ds_write_b128 v44, v[151:154]
	s_and_saveexec_b32 s1, s0
	s_cbranch_execz .LBB0_17
; %bb.16:
	ds_write_b128 v29, v[52:55]
.LBB0_17:
	s_or_b32 exec_lo, exec_lo, s1
	v_lshl_add_u32 v130, v119, 3, 0
	v_lshlrev_b32_e32 v32, 3, v128
	v_lshlrev_b32_e32 v33, 3, v138
	;; [unrolled: 1-line block ×3, first 2 shown]
	v_lshl_add_u32 v129, v127, 3, 0
	v_add_nc_u32_e32 v0, 0x1000, v130
	v_lshlrev_b32_e32 v78, 3, v135
	v_sub_nc_u32_e32 v4, v28, v32
	v_lshlrev_b32_e32 v79, 3, v136
	v_sub_nc_u32_e32 v5, v37, v33
	v_lshlrev_b32_e32 v82, 3, v114
	v_lshlrev_b32_e32 v83, 3, v112
	;; [unrolled: 1-line block ×3, first 2 shown]
	s_waitcnt lgkmcnt(0)
	s_barrier
	buffer_gl0_inv
	ds_read2_b64 v[94:97], v0 offset0:76 offset1:132
	ds_read2_b64 v[90:93], v0 offset0:188 offset1:244
	v_add_nc_u32_e32 v20, 0x1800, v130
	ds_read_b64 v[0:1], v130
	ds_read_b64 v[8:9], v129
	;; [unrolled: 1-line block ×4, first 2 shown]
	v_sub_nc_u32_e32 v4, v36, v75
	v_sub_nc_u32_e32 v5, v41, v78
	;; [unrolled: 1-line block ×5, first 2 shown]
	v_add_nc_u32_e32 v67, 0x2000, v130
	v_sub_nc_u32_e32 v70, v44, v86
	ds_read2_b64 v[98:101], v20 offset0:44 offset1:100
	ds_read2_b64 v[102:105], v20 offset0:156 offset1:212
	ds_read_b64 v[20:21], v4
	ds_read_b64 v[24:25], v5
	;; [unrolled: 1-line block ×4, first 2 shown]
	ds_read2_b64 v[106:109], v67 offset0:12 offset1:68
	ds_read_b64 v[66:67], v66
	ds_read_b64 v[70:71], v70
	s_and_saveexec_b32 s1, s0
	s_cbranch_execz .LBB0_19
; %bb.18:
	ds_read_b64 v[52:53], v130 offset:4480
	ds_read_b64 v[54:55], v130 offset:9184
.LBB0_19:
	s_or_b32 exec_lo, exec_lo, s1
	v_add_f64 v[133:134], v[2:3], -v[72:73]
	v_add_f64 v[4:5], v[60:61], -v[80:81]
	;; [unrolled: 1-line block ×11, first 2 shown]
	s_waitcnt lgkmcnt(0)
	s_barrier
	buffer_gl0_inv
	v_fma_f64 v[131:132], v[2:3], 2.0, -v[133:134]
	v_fma_f64 v[2:3], v[60:61], 2.0, -v[4:5]
	;; [unrolled: 1-line block ×11, first 2 shown]
	v_sub_nc_u32_e32 v19, 0, v32
	v_sub_nc_u32_e32 v18, 0, v33
	;; [unrolled: 1-line block ×8, first 2 shown]
	ds_write_b128 v74, v[131:134]
	ds_write_b128 v49, v[139:142]
	;; [unrolled: 1-line block ×10, first 2 shown]
	s_and_saveexec_b32 s1, s0
	s_cbranch_execz .LBB0_21
; %bb.20:
	ds_write_b128 v29, v[2:5]
.LBB0_21:
	s_or_b32 exec_lo, exec_lo, s1
	v_add_nc_u32_e32 v22, 0x1000, v130
	v_add_nc_u32_e32 v132, v37, v18
	;; [unrolled: 1-line block ×10, first 2 shown]
	s_waitcnt lgkmcnt(0)
	s_barrier
	buffer_gl0_inv
	ds_read2_b64 v[26:29], v22 offset0:76 offset1:132
	ds_read2_b64 v[30:33], v22 offset0:188 offset1:244
	ds_read_b64 v[56:57], v130
	ds_read_b64 v[60:61], v129
	;; [unrolled: 1-line block ×4, first 2 shown]
	ds_read2_b64 v[34:37], v18 offset0:44 offset1:100
	ds_read2_b64 v[38:41], v18 offset0:156 offset1:212
	v_add_nc_u32_e32 v134, v44, v6
	ds_read_b64 v[72:73], v139
	ds_read_b64 v[74:75], v140
	;; [unrolled: 1-line block ×4, first 2 shown]
	ds_read2_b64 v[42:45], v7 offset0:12 offset1:68
	ds_read_b64 v[80:81], v153
	ds_read_b64 v[82:83], v134
	v_lshlrev_b32_e32 v152, 1, v119
	v_lshlrev_b32_e32 v151, 1, v127
	;; [unrolled: 1-line block ×10, first 2 shown]
	s_and_saveexec_b32 s1, s0
	s_cbranch_execz .LBB0_23
; %bb.22:
	ds_read_b64 v[2:3], v130 offset:4480
	ds_read_b64 v[4:5], v130 offset:9184
.LBB0_23:
	s_or_b32 exec_lo, exec_lo, s1
	v_and_b32_e32 v154, 1, v119
	v_lshlrev_b32_e32 v142, 1, v126
	v_lshlrev_b32_e32 v6, 4, v154
	v_and_or_b32 v155, 0x7c, v152, v154
	v_and_or_b32 v156, 0xfc, v151, v154
	;; [unrolled: 1-line block ×4, first 2 shown]
	global_load_dwordx4 v[46:49], v6, s[8:9]
	v_and_or_b32 v159, 0x3fc, v148, v154
	v_and_or_b32 v160, 0x2fc, v147, v154
	;; [unrolled: 1-line block ×6, first 2 shown]
	s_waitcnt vmcnt(0) lgkmcnt(0)
	s_barrier
	buffer_gl0_inv
	v_mul_f64 v[6:7], v[26:27], v[48:49]
	v_mul_f64 v[50:51], v[36:37], v[48:49]
	;; [unrolled: 1-line block ×11, first 2 shown]
	v_fma_f64 v[6:7], v[94:95], v[46:47], v[6:7]
	v_fma_f64 v[50:51], v[100:101], v[46:47], v[50:51]
	;; [unrolled: 1-line block ×11, first 2 shown]
	v_add_f64 v[6:7], v[0:1], -v[6:7]
	v_add_f64 v[116:117], v[24:25], -v[50:51]
	;; [unrolled: 1-line block ×11, first 2 shown]
	v_fma_f64 v[114:115], v[0:1], 2.0, -v[6:7]
	v_fma_f64 v[24:25], v[24:25], 2.0, -v[116:117]
	;; [unrolled: 1-line block ×11, first 2 shown]
	v_lshl_add_u32 v0, v155, 3, 0
	v_lshl_add_u32 v1, v156, 3, 0
	;; [unrolled: 1-line block ×10, first 2 shown]
	ds_write2_b64 v0, v[114:115], v[6:7] offset1:2
	ds_write2_b64 v1, v[8:9], v[10:11] offset1:2
	;; [unrolled: 1-line block ×10, first 2 shown]
	s_and_saveexec_b32 s1, s0
	s_cbranch_execz .LBB0_25
; %bb.24:
	v_and_or_b32 v6, 0x4fc, v142, v154
	v_lshl_add_u32 v6, v6, 3, 0
	ds_write2_b64 v6, v[52:53], v[50:51] offset1:2
.LBB0_25:
	s_or_b32 exec_lo, exec_lo, s1
	v_add_nc_u32_e32 v6, 0x1000, v130
	v_add_nc_u32_e32 v14, 0x1800, v130
	v_add_nc_u32_e32 v22, 0x2000, v130
	s_waitcnt lgkmcnt(0)
	s_barrier
	buffer_gl0_inv
	ds_read2_b64 v[10:13], v6 offset0:76 offset1:132
	ds_read2_b64 v[6:9], v6 offset0:188 offset1:244
	ds_read_b64 v[58:59], v130
	ds_read_b64 v[62:63], v129
	;; [unrolled: 1-line block ×4, first 2 shown]
	ds_read2_b64 v[18:21], v14 offset0:44 offset1:100
	ds_read2_b64 v[14:17], v14 offset0:156 offset1:212
	ds_read_b64 v[84:85], v139
	ds_read_b64 v[86:87], v140
	;; [unrolled: 1-line block ×4, first 2 shown]
	ds_read2_b64 v[22:25], v22 offset0:12 offset1:68
	ds_read_b64 v[114:115], v153
	ds_read_b64 v[116:117], v134
	s_and_saveexec_b32 s1, s0
	s_cbranch_execz .LBB0_27
; %bb.26:
	ds_read_b64 v[52:53], v130 offset:4480
	ds_read_b64 v[50:51], v130 offset:9184
.LBB0_27:
	s_or_b32 exec_lo, exec_lo, s1
	v_mul_f64 v[94:95], v[94:95], v[48:49]
	v_mul_f64 v[96:97], v[96:97], v[48:49]
	;; [unrolled: 1-line block ×11, first 2 shown]
	s_waitcnt lgkmcnt(0)
	s_barrier
	buffer_gl0_inv
	v_fma_f64 v[26:27], v[26:27], v[46:47], -v[94:95]
	v_fma_f64 v[28:29], v[28:29], v[46:47], -v[96:97]
	;; [unrolled: 1-line block ×11, first 2 shown]
	v_add_f64 v[26:27], v[56:57], -v[26:27]
	v_add_f64 v[28:29], v[60:61], -v[28:29]
	;; [unrolled: 1-line block ×11, first 2 shown]
	v_fma_f64 v[4:5], v[56:57], 2.0, -v[26:27]
	v_fma_f64 v[46:47], v[60:61], 2.0, -v[28:29]
	;; [unrolled: 1-line block ×11, first 2 shown]
	ds_write2_b64 v0, v[4:5], v[26:27] offset1:2
	ds_write2_b64 v1, v[46:47], v[28:29] offset1:2
	;; [unrolled: 1-line block ×10, first 2 shown]
	s_and_saveexec_b32 s1, s0
	s_cbranch_execz .LBB0_29
; %bb.28:
	v_and_or_b32 v0, 0x4fc, v142, v154
	v_lshl_add_u32 v0, v0, 3, 0
	ds_write2_b64 v0, v[54:55], v[48:49] offset1:2
.LBB0_29:
	s_or_b32 exec_lo, exec_lo, s1
	v_add_nc_u32_e32 v4, 0x1000, v130
	s_waitcnt lgkmcnt(0)
	s_barrier
	buffer_gl0_inv
	ds_read2_b64 v[0:3], v4 offset0:76 offset1:132
	ds_read2_b64 v[32:35], v4 offset0:188 offset1:244
	v_add_nc_u32_e32 v4, 0x1800, v130
	ds_read_b64 v[26:27], v130
	ds_read_b64 v[56:57], v129
	;; [unrolled: 1-line block ×4, first 2 shown]
	ds_read2_b64 v[36:39], v4 offset0:44 offset1:100
	ds_read2_b64 v[40:43], v4 offset0:156 offset1:212
	v_add_nc_u32_e32 v4, 0x2000, v130
	ds_read_b64 v[68:69], v139
	ds_read_b64 v[72:73], v140
	;; [unrolled: 1-line block ×4, first 2 shown]
	ds_read2_b64 v[44:47], v4 offset0:12 offset1:68
	ds_read_b64 v[78:79], v153
	ds_read_b64 v[80:81], v134
	s_and_saveexec_b32 s1, s0
	s_cbranch_execz .LBB0_31
; %bb.30:
	ds_read_b64 v[54:55], v130 offset:4480
	ds_read_b64 v[48:49], v130 offset:9184
.LBB0_31:
	s_or_b32 exec_lo, exec_lo, s1
	v_and_b32_e32 v82, 3, v119
	v_lshlrev_b32_e32 v4, 4, v82
	v_and_or_b32 v158, 0x3f8, v144, v82
	v_and_or_b32 v159, 0x7f8, v143, v82
	;; [unrolled: 1-line block ×4, first 2 shown]
	global_load_dwordx4 v[28:31], v4, s[8:9] offset:32
	v_and_or_b32 v154, 0x3f8, v148, v82
	v_and_or_b32 v155, 0x2f8, v147, v82
	;; [unrolled: 1-line block ×6, first 2 shown]
	s_waitcnt vmcnt(0) lgkmcnt(0)
	s_barrier
	buffer_gl0_inv
	v_mul_f64 v[4:5], v[0:1], v[30:31]
	v_mul_f64 v[90:91], v[2:3], v[30:31]
	;; [unrolled: 1-line block ×10, first 2 shown]
	v_fma_f64 v[4:5], v[10:11], v[28:29], v[4:5]
	v_fma_f64 v[90:91], v[12:13], v[28:29], v[90:91]
	;; [unrolled: 1-line block ×10, first 2 shown]
	v_add_f64 v[4:5], v[58:59], -v[4:5]
	v_add_f64 v[90:91], v[62:63], -v[90:91]
	;; [unrolled: 1-line block ×10, first 2 shown]
	v_fma_f64 v[58:59], v[58:59], 2.0, -v[4:5]
	v_fma_f64 v[62:63], v[62:63], 2.0, -v[90:91]
	;; [unrolled: 1-line block ×10, first 2 shown]
	v_lshl_add_u32 v67, v83, 3, 0
	v_lshl_add_u32 v70, v151, 3, 0
	;; [unrolled: 1-line block ×10, first 2 shown]
	ds_write2_b64 v67, v[58:59], v[4:5] offset1:4
	ds_write2_b64 v70, v[62:63], v[90:91] offset1:4
	ds_write2_b64 v71, v[108:109], v[92:93] offset1:4
	ds_write2_b64 v83, v[143:144], v[94:95] offset1:4
	ds_write2_b64 v84, v[145:146], v[96:97] offset1:4
	ds_write2_b64 v85, v[147:148], v[98:99] offset1:4
	ds_write2_b64 v86, v[149:150], v[100:101] offset1:4
	ds_write2_b64 v87, v[112:113], v[102:103] offset1:4
	ds_write2_b64 v88, v[114:115], v[104:105] offset1:4
	ds_write2_b64 v89, v[116:117], v[106:107] offset1:4
	s_and_saveexec_b32 s1, s0
	s_cbranch_execz .LBB0_33
; %bb.32:
	v_mul_f64 v[4:5], v[48:49], v[30:31]
	v_and_or_b32 v58, 0x4f8, v142, v82
	v_lshl_add_u32 v58, v58, 3, 0
	v_fma_f64 v[4:5], v[50:51], v[28:29], v[4:5]
	v_add_f64 v[4:5], v[52:53], -v[4:5]
	v_fma_f64 v[52:53], v[52:53], 2.0, -v[4:5]
	ds_write2_b64 v58, v[52:53], v[4:5] offset1:4
.LBB0_33:
	s_or_b32 exec_lo, exec_lo, s1
	v_mul_f64 v[4:5], v[10:11], v[30:31]
	v_mul_f64 v[10:11], v[12:13], v[30:31]
	v_mul_f64 v[6:7], v[6:7], v[30:31]
	v_mul_f64 v[8:9], v[8:9], v[30:31]
	v_mul_f64 v[12:13], v[18:19], v[30:31]
	v_mul_f64 v[18:19], v[20:21], v[30:31]
	v_mul_f64 v[14:15], v[14:15], v[30:31]
	v_mul_f64 v[16:17], v[16:17], v[30:31]
	v_mul_f64 v[20:21], v[22:23], v[30:31]
	v_mul_f64 v[22:23], v[24:25], v[30:31]
	v_add_nc_u32_e32 v58, 0x1400, v130
	v_add_nc_u32_e32 v62, 0x1800, v130
	v_add_nc_u32_e32 v66, 0x1000, v130
	v_add_nc_u32_e32 v59, 0xc00, v130
	v_add_nc_u32_e32 v63, 0x2000, v130
	s_waitcnt lgkmcnt(0)
	s_barrier
	buffer_gl0_inv
	v_fma_f64 v[4:5], v[0:1], v[28:29], -v[4:5]
	v_fma_f64 v[10:11], v[2:3], v[28:29], -v[10:11]
	;; [unrolled: 1-line block ×10, first 2 shown]
	ds_read2st64_b64 v[0:3], v130 offset1:7
	ds_read_b64 v[42:43], v129
	ds_read_b64 v[40:41], v131
	;; [unrolled: 1-line block ×5, first 2 shown]
	v_add_f64 v[44:45], v[26:27], -v[4:5]
	v_add_f64 v[46:47], v[56:57], -v[10:11]
	;; [unrolled: 1-line block ×10, first 2 shown]
	ds_read_b64 v[52:53], v141
	ds_read_b64 v[36:37], v133
	ds_read2_b64 v[4:7], v58 offset0:88 offset1:144
	ds_read2_b64 v[16:19], v62 offset0:72 offset1:128
	;; [unrolled: 1-line block ×3, first 2 shown]
	v_fma_f64 v[106:107], v[26:27], 2.0, -v[44:45]
	v_fma_f64 v[56:57], v[56:57], 2.0, -v[46:47]
	ds_read2_b64 v[24:27], v62 offset0:184 offset1:240
	ds_read2_b64 v[20:23], v66 offset0:104 offset1:160
	;; [unrolled: 1-line block ×3, first 2 shown]
	v_fma_f64 v[60:61], v[60:61], 2.0, -v[90:91]
	v_fma_f64 v[64:65], v[64:65], 2.0, -v[92:93]
	;; [unrolled: 1-line block ×8, first 2 shown]
	s_waitcnt lgkmcnt(0)
	s_barrier
	buffer_gl0_inv
	ds_write2_b64 v67, v[106:107], v[44:45] offset1:4
	ds_write2_b64 v70, v[56:57], v[46:47] offset1:4
	;; [unrolled: 1-line block ×10, first 2 shown]
	s_and_saveexec_b32 s1, s0
	s_cbranch_execz .LBB0_35
; %bb.34:
	v_mul_f64 v[30:31], v[50:51], v[30:31]
	v_and_or_b32 v44, 0x4f8, v142, v82
	v_lshl_add_u32 v44, v44, 3, 0
	v_fma_f64 v[28:29], v[48:49], v[28:29], -v[30:31]
	v_add_f64 v[28:29], v[54:55], -v[28:29]
	v_fma_f64 v[30:31], v[54:55], 2.0, -v[28:29]
	ds_write2_b64 v44, v[30:31], v[28:29] offset1:4
.LBB0_35:
	s_or_b32 exec_lo, exec_lo, s1
	v_and_b32_e32 v54, 7, v119
	s_waitcnt lgkmcnt(0)
	s_barrier
	buffer_gl0_inv
	v_lshrrev_b32_e32 v56, 3, v127
	v_lshlrev_b32_e32 v28, 5, v54
	v_and_b32_e32 v106, 0xff, v119
	v_and_b32_e32 v107, 0xff, v127
	v_lshrrev_b32_e32 v57, 3, v128
	v_lshrrev_b32_e32 v55, 3, v119
	s_clause 0x1
	global_load_dwordx4 v[67:70], v28, s[8:9] offset:96
	global_load_dwordx4 v[71:74], v28, s[8:9] offset:112
	v_mul_lo_u32 v108, v56, 24
	v_mul_lo_u16 v56, 0xab, v106
	v_mul_lo_u16 v106, 0xab, v107
	v_lshrrev_b32_e32 v61, 3, v138
	v_lshrrev_b32_e32 v103, 3, v137
	;; [unrolled: 1-line block ×4, first 2 shown]
	v_mul_lo_u32 v112, v57, 24
	v_mul_u32_u24_e32 v55, 24, v55
	v_lshrrev_b16 v57, 12, v56
	v_lshrrev_b16 v56, 12, v106
	ds_read2st64_b64 v[28:31], v130 offset1:7
	ds_read2_b64 v[75:78], v58 offset0:88 offset1:144
	ds_read2_b64 v[79:82], v62 offset0:72 offset1:128
	;; [unrolled: 1-line block ×4, first 2 shown]
	ds_read_b64 v[64:65], v129
	ds_read_b64 v[99:100], v131
	;; [unrolled: 1-line block ×4, first 2 shown]
	ds_read2_b64 v[91:94], v66 offset0:104 offset1:160
	ds_read_b64 v[46:47], v140
	ds_read2_b64 v[95:98], v63 offset0:40 offset1:96
	ds_read_b64 v[101:102], v141
	ds_read_b64 v[44:45], v133
	v_mul_lo_u32 v61, v61, 24
	v_mul_lo_u32 v103, v103, 24
	;; [unrolled: 1-line block ×4, first 2 shown]
	v_or_b32_e32 v55, v55, v54
	v_or_b32_e32 v106, v108, v54
	;; [unrolled: 1-line block ×3, first 2 shown]
	v_mul_lo_u16 v108, v57, 24
	v_mul_lo_u16 v112, v56, 24
	v_mov_b32_e32 v109, 6
	v_or_b32_e32 v61, v61, v54
	v_or_b32_e32 v103, v103, v54
	;; [unrolled: 1-line block ×4, first 2 shown]
	v_lshl_add_u32 v175, v55, 3, 0
	v_sub_nc_u16 v54, v119, v108
	v_sub_nc_u16 v55, v127, v112
	v_lshl_add_u32 v176, v106, 3, 0
	v_lshl_add_u32 v177, v107, 3, 0
	;; [unrolled: 1-line block ×3, first 2 shown]
	v_mul_u32_u24_sdwa v106, v54, v109 dst_sel:DWORD dst_unused:UNUSED_PAD src0_sel:BYTE_0 src1_sel:DWORD
	v_mul_u32_u24_sdwa v107, v55, v109 dst_sel:DWORD dst_unused:UNUSED_PAD src0_sel:BYTE_0 src1_sel:DWORD
	v_lshl_add_u32 v179, v104, 3, 0
	v_lshl_add_u32 v180, v105, 3, 0
	s_mov_b32 s0, 0xe8584caa
	v_lshlrev_b32_e32 v181, 4, v106
	v_lshlrev_b32_e32 v182, 4, v107
	s_mov_b32 s1, 0xbfebb67a
	s_mov_b32 s5, 0x3febb67a
	;; [unrolled: 1-line block ×3, first 2 shown]
	v_add_nc_u32_e32 v60, 0x800, v130
	s_waitcnt vmcnt(0) lgkmcnt(0)
	s_barrier
	buffer_gl0_inv
	v_lshl_add_u32 v61, v61, 3, 0
	s_mov_b32 s16, 0x36b3c0b5
	s_mov_b32 s20, 0xe976ee23
	;; [unrolled: 1-line block ×16, first 2 shown]
	v_mul_f64 v[103:104], v[101:102], v[69:70]
	v_mul_f64 v[105:106], v[52:53], v[69:70]
	;; [unrolled: 1-line block ×28, first 2 shown]
	v_fma_f64 v[52:53], v[52:53], v[67:68], v[103:104]
	v_fma_f64 v[101:102], v[101:102], v[67:68], -v[105:106]
	v_fma_f64 v[6:7], v[6:7], v[71:72], v[107:108]
	v_fma_f64 v[77:78], v[77:78], v[71:72], -v[112:113]
	;; [unrolled: 2-line block ×14, first 2 shown]
	v_add_f64 v[73:74], v[52:53], v[6:7]
	v_add_f64 v[75:76], v[101:102], -v[77:78]
	v_add_f64 v[97:98], v[28:29], v[101:102]
	v_add_f64 v[101:102], v[101:102], v[77:78]
	;; [unrolled: 1-line block ×3, first 2 shown]
	v_add_f64 v[107:108], v[30:31], -v[79:80]
	v_add_f64 v[112:113], v[64:65], v[30:31]
	v_add_f64 v[30:31], v[30:31], v[79:80]
	;; [unrolled: 1-line block ×4, first 2 shown]
	v_add_f64 v[135:136], v[83:84], -v[81:82]
	v_add_f64 v[137:138], v[99:100], v[83:84]
	v_add_f64 v[83:84], v[83:84], v[81:82]
	v_add_f64 v[141:142], v[14:15], v[24:25]
	v_add_f64 v[143:144], v[85:86], -v[87:88]
	v_add_f64 v[145:146], v[50:51], v[85:86]
	v_add_f64 v[85:86], v[85:86], v[87:88]
	v_add_f64 v[149:150], v[20:21], v[26:27]
	;; [unrolled: 4-line block ×4, first 2 shown]
	v_add_f64 v[167:168], v[67:68], -v[69:70]
	v_add_f64 v[169:170], v[44:45], v[67:68]
	v_add_f64 v[67:68], v[67:68], v[69:70]
	v_add_f64 v[52:53], v[52:53], -v[6:7]
	v_fma_f64 v[0:1], v[73:74], -0.5, v[0:1]
	v_fma_f64 v[28:29], v[101:102], -0.5, v[28:29]
	v_add_f64 v[103:104], v[42:43], v[2:3]
	v_add_f64 v[2:3], v[2:3], -v[16:17]
	v_fma_f64 v[42:43], v[105:106], -0.5, v[42:43]
	v_fma_f64 v[30:31], v[30:31], -0.5, v[64:65]
	v_add_f64 v[114:115], v[40:41], v[12:13]
	v_add_f64 v[12:13], v[12:13], -v[18:19]
	v_add_f64 v[6:7], v[71:72], v[6:7]
	v_add_f64 v[71:72], v[97:98], v[77:78]
	v_fma_f64 v[40:41], v[116:117], -0.5, v[40:41]
	v_fma_f64 v[77:78], v[83:84], -0.5, v[99:100]
	v_add_f64 v[139:140], v[38:39], v[14:15]
	v_add_f64 v[14:15], v[14:15], -v[24:25]
	v_fma_f64 v[38:39], v[141:142], -0.5, v[38:39]
	v_fma_f64 v[50:51], v[85:86], -0.5, v[50:51]
	v_add_f64 v[147:148], v[34:35], v[20:21]
	v_add_f64 v[20:21], v[20:21], -v[26:27]
	v_fma_f64 v[34:35], v[149:150], -0.5, v[34:35]
	v_fma_f64 v[48:49], v[91:92], -0.5, v[48:49]
	v_add_f64 v[155:156], v[32:33], v[22:23]
	v_add_f64 v[22:23], v[22:23], -v[8:9]
	v_fma_f64 v[32:33], v[157:158], -0.5, v[32:33]
	v_fma_f64 v[46:47], v[93:94], -0.5, v[46:47]
	v_add_f64 v[163:164], v[36:37], v[4:5]
	v_add_f64 v[4:5], v[4:5], -v[10:11]
	v_fma_f64 v[36:37], v[165:166], -0.5, v[36:37]
	v_fma_f64 v[44:45], v[67:68], -0.5, v[44:45]
	v_fma_f64 v[67:68], v[75:76], s[0:1], v[0:1]
	v_fma_f64 v[0:1], v[75:76], s[4:5], v[0:1]
	;; [unrolled: 1-line block ×4, first 2 shown]
	v_add_f64 v[16:17], v[103:104], v[16:17]
	v_add_f64 v[73:74], v[112:113], v[79:80]
	v_fma_f64 v[28:29], v[107:108], s[0:1], v[42:43]
	v_fma_f64 v[85:86], v[2:3], s[4:5], v[30:31]
	v_add_f64 v[79:80], v[145:146], v[87:88]
	v_fma_f64 v[42:43], v[107:108], s[4:5], v[42:43]
	v_fma_f64 v[87:88], v[2:3], s[0:1], v[30:31]
	v_add_f64 v[18:19], v[114:115], v[18:19]
	v_add_f64 v[64:65], v[137:138], v[81:82]
	;; [unrolled: 1-line block ×3, first 2 shown]
	v_fma_f64 v[2:3], v[135:136], s[0:1], v[40:41]
	v_fma_f64 v[89:90], v[12:13], s[4:5], v[77:78]
	;; [unrolled: 1-line block ×4, first 2 shown]
	v_add_f64 v[24:25], v[139:140], v[24:25]
	v_add_f64 v[83:84], v[161:162], v[95:96]
	v_fma_f64 v[12:13], v[143:144], s[0:1], v[38:39]
	v_fma_f64 v[95:96], v[14:15], s[4:5], v[50:51]
	v_fma_f64 v[38:39], v[143:144], s[4:5], v[38:39]
	v_fma_f64 v[50:51], v[14:15], s[0:1], v[50:51]
	v_add_f64 v[26:27], v[147:148], v[26:27]
	v_fma_f64 v[40:41], v[151:152], s[0:1], v[34:35]
	v_fma_f64 v[97:98], v[20:21], s[4:5], v[48:49]
	v_fma_f64 v[34:35], v[151:152], s[4:5], v[34:35]
	v_fma_f64 v[48:49], v[20:21], s[0:1], v[48:49]
	v_add_f64 v[8:9], v[155:156], v[8:9]
	v_fma_f64 v[91:92], v[159:160], s[0:1], v[32:33]
	v_fma_f64 v[99:100], v[22:23], s[4:5], v[46:47]
	v_fma_f64 v[32:33], v[159:160], s[4:5], v[32:33]
	v_fma_f64 v[46:47], v[22:23], s[0:1], v[46:47]
	v_add_f64 v[10:11], v[163:164], v[10:11]
	v_add_f64 v[69:70], v[169:170], v[69:70]
	v_fma_f64 v[93:94], v[167:168], s[0:1], v[36:37]
	v_fma_f64 v[101:102], v[4:5], s[4:5], v[44:45]
	;; [unrolled: 1-line block ×4, first 2 shown]
	ds_write2_b64 v175, v[6:7], v[67:68] offset1:8
	ds_write_b64 v175, v[0:1] offset:128
	ds_write2_b64 v176, v[16:17], v[28:29] offset1:8
	ds_write_b64 v176, v[42:43] offset:128
	;; [unrolled: 2-line block ×7, first 2 shown]
	s_waitcnt lgkmcnt(0)
	s_barrier
	buffer_gl0_inv
	ds_read2_b64 v[0:3], v130 offset1:224
	ds_read_b64 v[40:41], v134
	ds_read2_b64 v[8:11], v66 offset0:104 offset1:160
	ds_read2_b64 v[28:31], v62 offset0:72 offset1:128
	;; [unrolled: 1-line block ×3, first 2 shown]
	ds_read_b64 v[38:39], v129
	ds_read2_b64 v[24:27], v60 offset0:24 offset1:136
	ds_read2_b64 v[20:23], v59 offset0:64 offset1:176
	;; [unrolled: 1-line block ×4, first 2 shown]
	ds_read_b64 v[42:43], v133
	ds_read_b64 v[44:45], v132
	;; [unrolled: 1-line block ×3, first 2 shown]
	s_waitcnt lgkmcnt(0)
	s_barrier
	buffer_gl0_inv
	ds_write2_b64 v175, v[71:72], v[75:76] offset1:8
	ds_write_b64 v175, v[52:53] offset:128
	ds_write2_b64 v176, v[73:74], v[85:86] offset1:8
	ds_write_b64 v176, v[87:88] offset:128
	;; [unrolled: 2-line block ×7, first 2 shown]
	s_waitcnt lgkmcnt(0)
	s_barrier
	buffer_gl0_inv
	s_clause 0x3
	global_load_dwordx4 v[32:35], v181, s[8:9] offset:416
	global_load_dwordx4 v[46:49], v182, s[8:9] offset:416
	global_load_dwordx4 v[50:53], v181, s[8:9] offset:352
	global_load_dwordx4 v[67:70], v181, s[8:9] offset:368
	v_and_b32_e32 v61, 0xff, v128
	s_clause 0x6
	global_load_dwordx4 v[71:74], v181, s[8:9] offset:384
	global_load_dwordx4 v[75:78], v181, s[8:9] offset:400
	;; [unrolled: 1-line block ×7, first 2 shown]
	v_mul_lo_u16 v61, 0xab, v61
	v_mov_b32_e32 v160, 3
	s_mov_b32 s0, 0x37e14327
	s_mov_b32 s1, 0x3fe948f6
	;; [unrolled: 1-line block ×3, first 2 shown]
	v_lshrrev_b16 v61, 12, v61
	v_lshlrev_b32_sdwa v188, v160, v55 dst_sel:DWORD dst_unused:UNUSED_PAD src0_sel:DWORD src1_sel:BYTE_0
	s_mov_b32 s5, 0xbff2aaaa
	v_mul_lo_u16 v64, v61, 24
	v_sub_nc_u16 v159, v128, v64
	v_mul_u32_u24_sdwa v64, v159, v109 dst_sel:DWORD dst_unused:UNUSED_PAD src0_sel:BYTE_0 src1_sel:DWORD
	v_mov_b32_e32 v109, 0x540
	v_lshlrev_b32_sdwa v189, v160, v159 dst_sel:DWORD dst_unused:UNUSED_PAD src0_sel:DWORD src1_sel:BYTE_0
	v_lshlrev_b32_e32 v64, 4, v64
	s_clause 0x6
	global_load_dwordx4 v[99:102], v182, s[8:9] offset:432
	global_load_dwordx4 v[103:106], v64, s[8:9] offset:352
	;; [unrolled: 1-line block ×7, first 2 shown]
	ds_read2_b64 v[151:154], v62 offset0:72 offset1:128
	ds_read_b64 v[64:65], v132
	ds_read_b64 v[107:108], v133
	;; [unrolled: 1-line block ×3, first 2 shown]
	v_mul_u32_u24_sdwa v163, v57, v109 dst_sel:DWORD dst_unused:UNUSED_PAD src0_sel:WORD_0 src1_sel:DWORD
	v_mul_u32_u24_sdwa v187, v56, v109 dst_sel:DWORD dst_unused:UNUSED_PAD src0_sel:WORD_0 src1_sel:DWORD
	;; [unrolled: 1-line block ×3, first 2 shown]
	v_lshlrev_b32_sdwa v109, v160, v54 dst_sel:DWORD dst_unused:UNUSED_PAD src0_sel:DWORD src1_sel:BYTE_0
	ds_read2_b64 v[54:57], v66 offset0:104 offset1:160
	ds_read2_b64 v[155:158], v62 offset0:184 offset1:240
	ds_read_b64 v[179:180], v129
	ds_read_b64 v[181:182], v131
	ds_read2_b64 v[159:162], v130 offset1:224
	ds_read2_b64 v[167:170], v59 offset0:64 offset1:176
	ds_read2_b64 v[171:174], v58 offset0:88 offset1:144
	v_add3_u32 v109, 0, v163, v109
	ds_read2_b64 v[163:166], v60 offset0:24 offset1:136
	v_add3_u32 v61, 0, v61, v189
	s_waitcnt vmcnt(17) lgkmcnt(11)
	v_mul_f64 v[116:117], v[151:152], v[34:35]
	v_mul_f64 v[34:35], v[28:29], v[34:35]
	s_waitcnt vmcnt(16)
	v_mul_f64 v[177:178], v[153:154], v[48:49]
	v_mul_f64 v[48:49], v[30:31], v[48:49]
	s_waitcnt vmcnt(15) lgkmcnt(10)
	v_mul_f64 v[183:184], v[64:65], v[52:53]
	v_mul_f64 v[52:53], v[44:45], v[52:53]
	s_waitcnt vmcnt(14) lgkmcnt(9)
	v_mul_f64 v[185:186], v[107:108], v[69:70]
	v_mul_f64 v[69:70], v[42:43], v[69:70]
	v_fma_f64 v[116:117], v[28:29], v[32:33], v[116:117]
	v_fma_f64 v[32:33], v[151:152], v[32:33], -v[34:35]
	s_waitcnt vmcnt(13) lgkmcnt(8)
	v_mul_f64 v[34:35], v[175:176], v[73:74]
	v_mul_f64 v[73:74], v[40:41], v[73:74]
	v_fma_f64 v[151:152], v[30:31], v[46:47], v[177:178]
	ds_read2_b64 v[28:31], v63 offset0:40 offset1:96
	v_fma_f64 v[46:47], v[153:154], v[46:47], -v[48:49]
	s_waitcnt vmcnt(12) lgkmcnt(8)
	v_mul_f64 v[48:49], v[56:57], v[77:78]
	v_mul_f64 v[77:78], v[10:11], v[77:78]
	v_fma_f64 v[44:45], v[44:45], v[50:51], v[183:184]
	s_waitcnt vmcnt(10) lgkmcnt(4)
	v_mul_f64 v[177:178], v[161:162], v[85:86]
	v_fma_f64 v[50:51], v[64:65], v[50:51], -v[52:53]
	v_mul_f64 v[52:53], v[2:3], v[85:86]
	s_waitcnt vmcnt(9) lgkmcnt(1)
	v_mul_f64 v[64:65], v[165:166], v[89:90]
	v_mul_f64 v[85:86], v[26:27], v[89:90]
	v_fma_f64 v[42:43], v[42:43], v[67:68], v[185:186]
	s_waitcnt vmcnt(8)
	v_mul_f64 v[89:90], v[169:170], v[93:94]
	v_fma_f64 v[67:68], v[107:108], v[67:68], -v[69:70]
	v_mul_f64 v[69:70], v[22:23], v[93:94]
	v_mul_f64 v[153:154], v[157:158], v[81:82]
	;; [unrolled: 1-line block ×3, first 2 shown]
	s_waitcnt vmcnt(7)
	v_mul_f64 v[93:94], v[171:172], v[97:98]
	v_mul_f64 v[97:98], v[16:17], v[97:98]
	s_waitcnt vmcnt(2)
	v_mul_f64 v[107:108], v[18:19], v[141:142]
	v_fma_f64 v[34:35], v[40:41], v[71:72], v[34:35]
	s_waitcnt lgkmcnt(0)
	v_mul_f64 v[40:41], v[28:29], v[101:102]
	v_fma_f64 v[71:72], v[175:176], v[71:72], -v[73:74]
	v_mul_f64 v[73:74], v[12:13], v[101:102]
	v_mul_f64 v[101:102], v[163:164], v[105:106]
	;; [unrolled: 1-line block ×3, first 2 shown]
	v_fma_f64 v[10:11], v[10:11], v[75:76], v[48:49]
	v_fma_f64 v[48:49], v[56:57], v[75:76], -v[77:78]
	v_mul_f64 v[56:57], v[167:168], v[114:115]
	v_mul_f64 v[75:76], v[20:21], v[114:115]
	v_fma_f64 v[2:3], v[2:3], v[83:84], v[177:178]
	v_fma_f64 v[26:27], v[26:27], v[87:88], v[64:65]
	v_fma_f64 v[64:65], v[165:166], v[87:88], -v[85:86]
	s_waitcnt vmcnt(1)
	v_mul_f64 v[85:86], v[155:156], v[145:146]
	v_fma_f64 v[22:23], v[22:23], v[91:92], v[89:90]
	s_waitcnt vmcnt(0)
	v_mul_f64 v[89:90], v[30:31], v[149:150]
	v_fma_f64 v[69:70], v[169:170], v[91:92], -v[69:70]
	v_mul_f64 v[91:92], v[14:15], v[149:150]
	v_fma_f64 v[6:7], v[6:7], v[79:80], v[153:154]
	v_fma_f64 v[77:78], v[157:158], v[79:80], -v[81:82]
	v_mul_f64 v[79:80], v[54:55], v[137:138]
	v_mul_f64 v[81:82], v[8:9], v[137:138]
	v_fma_f64 v[52:53], v[161:162], v[83:84], -v[52:53]
	v_mul_f64 v[83:84], v[173:174], v[141:142]
	v_mul_f64 v[87:88], v[4:5], v[145:146]
	v_fma_f64 v[12:13], v[12:13], v[99:100], v[40:41]
	v_fma_f64 v[28:29], v[28:29], v[99:100], -v[73:74]
	v_fma_f64 v[16:17], v[16:17], v[95:96], v[93:94]
	v_fma_f64 v[93:94], v[171:172], v[95:96], -v[97:98]
	;; [unrolled: 2-line block ×4, first 2 shown]
	v_fma_f64 v[73:74], v[173:174], v[139:140], -v[107:108]
	v_add3_u32 v157, 0, v187, v188
	v_fma_f64 v[4:5], v[4:5], v[143:144], v[85:86]
	v_fma_f64 v[14:15], v[14:15], v[147:148], v[89:90]
	s_barrier
	v_fma_f64 v[30:31], v[30:31], v[147:148], -v[91:92]
	buffer_gl0_inv
	v_fma_f64 v[8:9], v[8:9], v[135:136], v[79:80]
	v_fma_f64 v[54:55], v[54:55], v[135:136], -v[81:82]
	v_add_f64 v[79:80], v[44:45], v[6:7]
	v_fma_f64 v[18:19], v[18:19], v[139:140], v[83:84]
	v_fma_f64 v[75:76], v[155:156], v[143:144], -v[87:88]
	v_add_f64 v[81:82], v[50:51], v[77:78]
	v_add_f64 v[6:7], v[44:45], -v[6:7]
	v_add_f64 v[44:45], v[50:51], -v[77:78]
	v_add_f64 v[50:51], v[42:43], v[116:117]
	v_add_f64 v[77:78], v[67:68], v[32:33]
	v_add_f64 v[42:43], v[42:43], -v[116:117]
	v_add_f64 v[32:33], v[67:68], -v[32:33]
	v_add_f64 v[67:68], v[34:35], v[10:11]
	;; [unrolled: 4-line block ×4, first 2 shown]
	v_add_f64 v[52:53], v[64:65], v[46:47]
	v_add_f64 v[46:47], v[64:65], -v[46:47]
	v_add_f64 v[64:65], v[22:23], v[16:17]
	v_add_f64 v[85:86], v[69:70], v[93:94]
	v_add_f64 v[16:17], v[16:17], -v[22:23]
	v_add_f64 v[22:23], v[93:94], -v[69:70]
	v_add_f64 v[69:70], v[24:25], v[14:15]
	v_add_f64 v[87:88], v[40:41], v[30:31]
	v_add_f64 v[14:15], v[24:25], -v[14:15]
	;; [unrolled: 4-line block ×5, first 2 shown]
	v_add_f64 v[89:90], v[50:51], -v[79:80]
	v_add_f64 v[91:92], v[77:78], -v[81:82]
	;; [unrolled: 1-line block ×6, first 2 shown]
	v_add_f64 v[93:94], v[10:11], v[42:43]
	v_add_f64 v[95:96], v[34:35], v[32:33]
	v_add_f64 v[97:98], v[10:11], -v[42:43]
	v_add_f64 v[99:100], v[34:35], -v[32:33]
	;; [unrolled: 1-line block ×4, first 2 shown]
	v_add_f64 v[101:102], v[28:29], v[48:49]
	v_add_f64 v[137:138], v[30:31], v[69:70]
	;; [unrolled: 1-line block ×3, first 2 shown]
	v_add_f64 v[107:108], v[52:53], -v[71:72]
	v_add_f64 v[52:53], v[85:86], -v[52:53]
	v_add_f64 v[139:140], v[40:41], v[87:88]
	v_add_f64 v[10:11], v[6:7], -v[10:11]
	v_add_f64 v[54:55], v[67:68], v[54:55]
	v_add_f64 v[67:68], v[83:84], v[73:74]
	v_add_f64 v[34:35], v[44:45], -v[34:35]
	v_add_f64 v[105:106], v[28:29], -v[48:49]
	;; [unrolled: 1-line block ×4, first 2 shown]
	v_add_f64 v[112:113], v[16:17], v[26:27]
	v_add_f64 v[114:115], v[22:23], v[46:47]
	v_add_f64 v[116:117], v[16:17], -v[26:27]
	v_add_f64 v[135:136], v[22:23], -v[46:47]
	;; [unrolled: 1-line block ×3, first 2 shown]
	v_add_f64 v[145:146], v[8:9], v[4:5]
	v_add_f64 v[147:148], v[18:19], v[20:21]
	v_add_f64 v[149:150], v[8:9], -v[4:5]
	v_add_f64 v[151:152], v[18:19], -v[20:21]
	;; [unrolled: 1-line block ×4, first 2 shown]
	v_add_f64 v[6:7], v[93:94], v[6:7]
	v_add_f64 v[44:45], v[95:96], v[44:45]
	v_mul_f64 v[73:74], v[79:80], s[0:1]
	v_mul_f64 v[79:80], v[81:82], s[0:1]
	;; [unrolled: 1-line block ×8, first 2 shown]
	v_add_f64 v[64:65], v[64:65], v[101:102]
	v_add_f64 v[46:47], v[46:47], -v[12:13]
	v_add_f64 v[141:142], v[30:31], -v[69:70]
	v_add_f64 v[69:70], v[69:70], -v[56:57]
	v_add_f64 v[30:31], v[56:57], -v[30:31]
	v_add_f64 v[56:57], v[56:57], v[137:138]
	v_add_f64 v[71:72], v[71:72], -v[85:86]
	v_add_f64 v[143:144], v[40:41], -v[87:88]
	;; [unrolled: 1-line block ×4, first 2 shown]
	v_add_f64 v[85:86], v[85:86], v[103:104]
	v_mul_f64 v[103:104], v[52:53], s[16:17]
	v_add_f64 v[75:76], v[75:76], v[139:140]
	v_add_f64 v[0:1], v[0:1], v[54:55]
	;; [unrolled: 1-line block ×3, first 2 shown]
	v_add_f64 v[16:17], v[2:3], -v[16:17]
	v_add_f64 v[22:23], v[12:13], -v[22:23]
	;; [unrolled: 1-line block ×4, first 2 shown]
	v_add_f64 v[2:3], v[112:113], v[2:3]
	v_add_f64 v[12:13], v[114:115], v[12:13]
	v_mul_f64 v[48:49], v[48:49], s[0:1]
	v_mul_f64 v[101:102], v[28:29], s[16:17]
	;; [unrolled: 1-line block ×5, first 2 shown]
	v_add_f64 v[14:15], v[145:146], v[14:15]
	v_add_f64 v[24:25], v[147:148], v[24:25]
	v_mul_f64 v[145:146], v[149:150], s[20:21]
	v_mul_f64 v[147:148], v[151:152], s[20:21]
	;; [unrolled: 1-line block ×4, first 2 shown]
	v_fma_f64 v[50:51], v[50:51], s[16:17], v[73:74]
	v_fma_f64 v[77:78], v[77:78], s[16:17], v[79:80]
	v_fma_f64 v[81:82], v[89:90], s[10:11], -v[81:82]
	v_fma_f64 v[83:84], v[91:92], s[10:11], -v[83:84]
	;; [unrolled: 1-line block ×4, first 2 shown]
	v_fma_f64 v[89:90], v[10:11], s[18:19], v[93:94]
	v_fma_f64 v[91:92], v[34:35], s[18:19], v[95:96]
	v_fma_f64 v[42:43], v[42:43], s[6:7], -v[93:94]
	v_fma_f64 v[10:11], v[10:11], s[24:25], -v[97:98]
	;; [unrolled: 1-line block ×3, first 2 shown]
	v_add_f64 v[38:39], v[38:39], v[64:65]
	v_mul_f64 v[135:136], v[46:47], s[6:7]
	v_mul_f64 v[69:70], v[69:70], s[0:1]
	v_add_f64 v[36:37], v[36:37], v[56:57]
	v_mul_f64 v[137:138], v[30:31], s[16:17]
	v_mul_f64 v[71:72], v[71:72], s[0:1]
	;; [unrolled: 1-line block ×4, first 2 shown]
	v_fma_f64 v[32:33], v[32:33], s[6:7], -v[95:96]
	v_add_f64 v[93:94], v[179:180], v[85:86]
	v_fma_f64 v[97:98], v[107:108], s[10:11], -v[103:104]
	v_add_f64 v[103:104], v[181:182], v[75:76]
	v_fma_f64 v[54:55], v[54:55], s[4:5], v[0:1]
	v_fma_f64 v[67:68], v[67:68], s[4:5], v[153:154]
	v_fma_f64 v[28:29], v[28:29], s[16:17], v[48:49]
	v_fma_f64 v[95:96], v[105:106], s[10:11], -v[101:102]
	v_fma_f64 v[99:100], v[16:17], s[18:19], v[112:113]
	v_fma_f64 v[101:102], v[22:23], s[18:19], v[114:115]
	v_fma_f64 v[26:27], v[26:27], s[6:7], -v[112:113]
	v_fma_f64 v[46:47], v[46:47], s[6:7], -v[114:115]
	;; [unrolled: 1-line block ×3, first 2 shown]
	v_fma_f64 v[112:113], v[8:9], s[18:19], v[145:146]
	v_fma_f64 v[114:115], v[18:19], s[18:19], v[147:148]
	v_fma_f64 v[4:5], v[4:5], s[6:7], -v[145:146]
	v_fma_f64 v[8:9], v[8:9], s[24:25], -v[149:150]
	;; [unrolled: 1-line block ×3, first 2 shown]
	v_fma_f64 v[89:90], v[6:7], s[22:23], v[89:90]
	v_fma_f64 v[42:43], v[6:7], s[22:23], v[42:43]
	;; [unrolled: 1-line block ×5, first 2 shown]
	v_fma_f64 v[48:49], v[105:106], s[14:15], -v[48:49]
	v_fma_f64 v[22:23], v[22:23], s[24:25], -v[135:136]
	v_fma_f64 v[30:31], v[30:31], s[16:17], v[69:70]
	v_fma_f64 v[56:57], v[56:57], s[4:5], v[36:37]
	v_fma_f64 v[105:106], v[141:142], s[10:11], -v[137:138]
	v_fma_f64 v[69:70], v[141:142], s[14:15], -v[69:70]
	;; [unrolled: 1-line block ×3, first 2 shown]
	v_fma_f64 v[52:53], v[52:53], s[16:17], v[71:72]
	v_fma_f64 v[71:72], v[107:108], s[14:15], -v[71:72]
	v_fma_f64 v[40:41], v[40:41], s[16:17], v[87:88]
	v_fma_f64 v[107:108], v[143:144], s[10:11], -v[139:140]
	v_fma_f64 v[87:88], v[143:144], s[14:15], -v[87:88]
	v_fma_f64 v[91:92], v[44:45], s[22:23], v[91:92]
	v_fma_f64 v[32:33], v[44:45], s[22:23], v[32:33]
	;; [unrolled: 1-line block ×4, first 2 shown]
	v_add_f64 v[50:51], v[50:51], v[54:55]
	v_add_f64 v[73:74], v[73:74], v[54:55]
	;; [unrolled: 1-line block ×4, first 2 shown]
	v_fma_f64 v[64:65], v[2:3], s[22:23], v[99:100]
	v_fma_f64 v[85:86], v[12:13], s[22:23], v[101:102]
	;; [unrolled: 1-line block ×5, first 2 shown]
	v_add_f64 v[77:78], v[77:78], v[67:68]
	v_add_f64 v[67:68], v[83:84], v[67:68]
	v_fma_f64 v[4:5], v[14:15], s[22:23], v[4:5]
	v_fma_f64 v[8:9], v[14:15], s[22:23], v[8:9]
	;; [unrolled: 1-line block ×3, first 2 shown]
	v_add_f64 v[18:19], v[28:29], v[34:35]
	v_fma_f64 v[46:47], v[12:13], s[22:23], v[46:47]
	v_fma_f64 v[12:13], v[12:13], s[22:23], v[22:23]
	v_add_f64 v[28:29], v[95:96], v[34:35]
	v_add_f64 v[34:35], v[48:49], v[34:35]
	v_fma_f64 v[22:23], v[24:25], s[22:23], v[114:115]
	v_add_f64 v[30:31], v[30:31], v[56:57]
	v_fma_f64 v[20:21], v[24:25], s[22:23], v[20:21]
	v_add_f64 v[48:49], v[105:106], v[56:57]
	v_add_f64 v[56:57], v[69:70], v[56:57]
	;; [unrolled: 1-line block ×10, first 2 shown]
	v_add_f64 v[83:84], v[54:55], -v[32:33]
	v_add_f64 v[32:33], v[32:33], v[54:55]
	v_add_f64 v[10:11], v[73:74], -v[10:11]
	v_add_f64 v[97:98], v[79:80], -v[6:7]
	v_add_f64 v[54:55], v[6:7], v[79:80]
	v_add_f64 v[6:7], v[50:51], -v[91:92]
	v_add_f64 v[99:100], v[42:43], v[67:68]
	v_add_f64 v[42:43], v[67:68], -v[42:43]
	v_add_f64 v[67:68], v[85:86], v[18:19]
	v_add_f64 v[95:96], v[77:78], -v[89:90]
	v_add_f64 v[50:51], v[89:90], v[77:78]
	v_add_f64 v[77:78], v[12:13], v[34:35]
	v_add_f64 v[79:80], v[28:29], -v[46:47]
	v_add_f64 v[28:29], v[46:47], v[28:29]
	v_add_f64 v[12:13], v[34:35], -v[12:13]
	v_add_f64 v[18:19], v[18:19], -v[85:86]
	v_add_f64 v[34:35], v[22:23], v[30:31]
	v_add_f64 v[46:47], v[14:15], v[56:57]
	v_add_f64 v[85:86], v[48:49], -v[20:21]
	v_add_f64 v[20:21], v[20:21], v[48:49]
	v_add_f64 v[14:15], v[56:57], -v[14:15]
	v_add_f64 v[22:23], v[30:31], -v[22:23]
	;; [unrolled: 1-line block ×4, first 2 shown]
	v_add_f64 v[48:49], v[26:27], v[52:53]
	v_add_f64 v[52:53], v[52:53], -v[26:27]
	v_add_f64 v[44:45], v[2:3], v[44:45]
	v_add_f64 v[56:57], v[64:65], v[24:25]
	v_add_f64 v[64:65], v[40:41], -v[16:17]
	v_add_f64 v[101:102], v[69:70], -v[8:9]
	v_add_f64 v[105:106], v[4:5], v[71:72]
	v_add_f64 v[71:72], v[71:72], -v[4:5]
	v_add_f64 v[69:70], v[8:9], v[69:70]
	v_add_f64 v[40:41], v[16:17], v[40:41]
	ds_write2_b64 v109, v[0:1], v[75:76] offset1:24
	ds_write2_b64 v109, v[81:82], v[83:84] offset0:48 offset1:72
	ds_write2_b64 v109, v[32:33], v[10:11] offset0:96 offset1:120
	ds_write_b64 v109, v[6:7] offset:1152
	ds_write2_b64 v157, v[38:39], v[67:68] offset1:24
	ds_write2_b64 v157, v[77:78], v[79:80] offset0:48 offset1:72
	ds_write2_b64 v157, v[28:29], v[12:13] offset0:96 offset1:120
	ds_write_b64 v157, v[18:19] offset:1152
	ds_write2_b64 v61, v[36:37], v[34:35] offset1:24
	ds_write2_b64 v61, v[46:47], v[85:86] offset0:48 offset1:72
	ds_write2_b64 v61, v[20:21], v[14:15] offset0:96 offset1:120
	ds_write_b64 v61, v[22:23] offset:1152
	s_waitcnt lgkmcnt(0)
	s_barrier
	buffer_gl0_inv
	ds_read2_b64 v[0:3], v130 offset1:224
	ds_read_b64 v[84:85], v134
	ds_read2_b64 v[24:27], v66 offset0:104 offset1:160
	ds_read2_b64 v[4:7], v62 offset0:72 offset1:128
	;; [unrolled: 1-line block ×3, first 2 shown]
	ds_read_b64 v[80:81], v129
	ds_read2_b64 v[8:11], v60 offset0:24 offset1:136
	ds_read2_b64 v[12:15], v59 offset0:64 offset1:176
	;; [unrolled: 1-line block ×4, first 2 shown]
	ds_read_b64 v[86:87], v133
	ds_read_b64 v[88:89], v132
	;; [unrolled: 1-line block ×3, first 2 shown]
	s_waitcnt lgkmcnt(0)
	s_barrier
	buffer_gl0_inv
	ds_write2_b64 v109, v[153:154], v[95:96] offset1:24
	ds_write2_b64 v109, v[97:98], v[99:100] offset0:48 offset1:72
	ds_write2_b64 v109, v[42:43], v[54:55] offset0:96 offset1:120
	ds_write_b64 v109, v[50:51] offset:1152
	ds_write2_b64 v157, v[93:94], v[73:74] offset1:24
	ds_write2_b64 v157, v[90:91], v[48:49] offset0:48 offset1:72
	ds_write2_b64 v157, v[52:53], v[44:45] offset0:96 offset1:120
	ds_write_b64 v157, v[56:57] offset:1152
	;; [unrolled: 4-line block ×3, first 2 shown]
	s_waitcnt lgkmcnt(0)
	s_barrier
	buffer_gl0_inv
	s_and_saveexec_b32 s26, vcc_lo
	s_cbranch_execz .LBB0_37
; %bb.36:
	v_mul_u32_u24_e32 v32, 6, v119
	v_mov_b32_e32 v33, 0
	v_add_nc_u32_e32 v182, 0x1800, v130
	v_mad_u64_u32 v[159:160], null, s2, v123, 0
	v_lshlrev_b32_e32 v34, 4, v32
	v_mul_i32_i24_e32 v32, 6, v128
	v_mad_u64_u32 v[161:162], null, s2, v124, 0
	v_mad_u64_u32 v[165:166], null, s2, v125, 0
	v_add_co_u32 v40, s26, s8, v34
	v_add_co_ci_u32_e64 v41, null, s9, 0, s26
	v_lshlrev_b64 v[34:35], 4, v[32:33]
	v_add_co_u32 v36, vcc_lo, 0xaa0, v40
	v_add_co_ci_u32_e32 v37, vcc_lo, 0, v41, vcc_lo
	v_mul_i32_i24_e32 v32, 6, v127
	v_add_co_u32 v42, vcc_lo, s8, v34
	v_add_co_ci_u32_e32 v43, vcc_lo, s9, v35, vcc_lo
	global_load_dwordx4 v[96:99], v[36:37], off offset:16
	v_add_co_u32 v34, vcc_lo, 0x800, v42
	v_add_co_ci_u32_e32 v35, vcc_lo, 0, v43, vcc_lo
	v_lshlrev_b64 v[32:33], 4, v[32:33]
	v_mad_u64_u32 v[169:170], null, s2, v120, 0
	global_load_dwordx4 v[100:103], v[34:35], off offset:672
	v_add_co_u32 v36, vcc_lo, 0xa60, v40
	v_add_co_ci_u32_e32 v37, vcc_lo, 0, v41, vcc_lo
	v_add_co_u32 v38, vcc_lo, 0xa60, v42
	v_add_co_ci_u32_e32 v39, vcc_lo, 0, v43, vcc_lo
	global_load_dwordx4 v[104:107], v[36:37], off offset:48
	v_add_co_u32 v40, vcc_lo, 0x800, v40
	global_load_dwordx4 v[112:115], v[38:39], off offset:32
	v_add_co_ci_u32_e32 v41, vcc_lo, 0, v41, vcc_lo
	s_clause 0x3
	global_load_dwordx4 v[135:138], v[40:41], off offset:608
	global_load_dwordx4 v[139:142], v[36:37], off offset:16
	;; [unrolled: 1-line block ×4, first 2 shown]
	v_add_co_u32 v36, vcc_lo, 0xaa0, v42
	v_add_co_ci_u32_e32 v37, vcc_lo, 0, v43, vcc_lo
	s_clause 0x3
	global_load_dwordx4 v[72:75], v[34:35], off offset:608
	global_load_dwordx4 v[64:67], v[38:39], off offset:48
	global_load_dwordx4 v[68:71], v[38:39], off offset:16
	global_load_dwordx4 v[147:150], v[36:37], off offset:16
	v_add_co_u32 v40, vcc_lo, s8, v32
	v_add_co_ci_u32_e32 v41, vcc_lo, s9, v33, vcc_lo
	v_mad_u64_u32 v[171:172], null, s2, v121, 0
	v_add_co_u32 v32, vcc_lo, 0x800, v40
	v_add_co_ci_u32_e32 v33, vcc_lo, 0, v41, vcc_lo
	v_add_co_u32 v34, vcc_lo, 0xaa0, v40
	v_add_co_ci_u32_e32 v35, vcc_lo, 0, v41, vcc_lo
	;; [unrolled: 2-line block ×3, first 2 shown]
	s_clause 0x5
	global_load_dwordx4 v[40:43], v[32:33], off offset:608
	global_load_dwordx4 v[52:55], v[34:35], off offset:16
	;; [unrolled: 1-line block ×6, first 2 shown]
	ds_read2_b64 v[151:154], v182 offset0:184 offset1:240
	ds_read2_b64 v[60:63], v60 offset0:24 offset1:136
	ds_read2_b64 v[32:35], v130 offset1:224
	ds_read_b64 v[116:117], v133
	ds_read_b64 v[132:133], v132
	;; [unrolled: 1-line block ×5, first 2 shown]
	v_mad_u64_u32 v[173:174], null, s2, v122, 0
	v_mad_u64_u32 v[175:176], null, s2, v126, 0
	;; [unrolled: 1-line block ×3, first 2 shown]
	v_add_nc_u32_e32 v108, 0x2000, v130
	v_add_nc_u32_e32 v181, 0x1000, v130
	;; [unrolled: 1-line block ×3, first 2 shown]
	v_add_co_u32 v94, vcc_lo, s12, v110
	v_add_nc_u32_e32 v183, 0xc00, v130
	v_add_co_ci_u32_e32 v95, vcc_lo, s13, v111, vcc_lo
	ds_read2_b64 v[108:111], v108 offset0:40 offset1:96
	ds_read2_b64 v[127:130], v127 offset0:88 offset1:144
	v_add_nc_u32_e32 v134, 0x348, v119
	v_add_nc_u32_e32 v184, 0x3f0, v119
	v_lshrrev_b32_e32 v185, 3, v118
	v_add_nc_u32_e32 v131, 0x2a0, v119
	v_add_nc_u32_e32 v186, 0x2d8, v119
	v_mad_u64_u32 v[179:180], null, s2, v134, 0
	v_mul_hi_u32 v188, 0x18618619, v185
	v_mad_u64_u32 v[177:178], null, s2, v131, 0
	v_or_b32_e32 v187, 0x380, v119
	s_waitcnt vmcnt(17) lgkmcnt(9)
	v_mul_f64 v[163:164], v[98:99], v[153:154]
	v_mul_f64 v[98:99], v[30:31], v[98:99]
	s_waitcnt vmcnt(16)
	v_mul_f64 v[167:168], v[102:103], v[151:152]
	v_mul_f64 v[102:103], v[28:29], v[102:103]
	v_fma_f64 v[163:164], v[30:31], v[96:97], v[163:164]
	v_mov_b32_e32 v30, v162
	v_mov_b32_e32 v31, v166
	v_fma_f64 v[153:154], v[96:97], v[153:154], -v[98:99]
	v_mov_b32_e32 v96, v170
	v_mov_b32_e32 v97, v172
	v_fma_f64 v[167:168], v[28:29], v[100:101], v[167:168]
	v_mov_b32_e32 v29, v160
	v_fma_f64 v[151:152], v[100:101], v[151:152], -v[102:103]
	v_mov_b32_e32 v28, v158
	v_mad_u64_u32 v[98:99], null, s3, v123, v[29:30]
	v_mad_u64_u32 v[99:100], null, s3, v124, v[30:31]
	v_mov_b32_e32 v29, v174
	v_mov_b32_e32 v30, v176
	s_waitcnt lgkmcnt(7)
	v_mad_u64_u32 v[100:101], null, s3, v125, v[31:32]
	v_mad_u64_u32 v[101:102], null, s3, v120, v[96:97]
	;; [unrolled: 1-line block ×6, first 2 shown]
	ds_read2_b64 v[28:31], v181 offset0:104 offset1:160
	v_mad_u64_u32 v[123:124], null, s2, v184, 0
	v_mov_b32_e32 v174, v121
	v_mov_b32_e32 v158, v102
	;; [unrolled: 1-line block ×7, first 2 shown]
	v_lshlrev_b64 v[157:158], 4, v[157:158]
	v_mad_u64_u32 v[180:181], null, s3, v134, v[102:103]
	v_mov_b32_e32 v170, v101
	ds_read2_b64 v[100:103], v182 offset0:72 offset1:128
	v_mov_b32_e32 v160, v98
	v_mov_b32_e32 v162, v99
	v_lshlrev_b64 v[165:166], 4, v[165:166]
	v_lshlrev_b64 v[169:170], 4, v[169:170]
	v_lshlrev_b64 v[171:172], 4, v[171:172]
	s_waitcnt vmcnt(15) lgkmcnt(1)
	v_mul_f64 v[121:122], v[106:107], v[30:31]
	v_mul_f64 v[106:107], v[26:27], v[106:107]
	v_lshlrev_b64 v[159:160], 4, v[159:160]
	v_lshlrev_b64 v[161:162], 4, v[161:162]
	v_mov_b32_e32 v96, v178
	v_lshlrev_b64 v[173:174], 4, v[173:174]
	v_lshlrev_b64 v[179:180], 4, v[179:180]
	v_mad_u64_u32 v[125:126], null, s3, v131, v[96:97]
	ds_read2_b64 v[96:99], v183 offset0:64 offset1:176
	v_mov_b32_e32 v178, v125
	v_mad_u64_u32 v[125:126], null, s2, v186, 0
	v_mad_u64_u32 v[181:182], null, s3, v184, v[120:121]
	s_waitcnt vmcnt(14)
	v_mul_f64 v[184:185], v[114:115], v[28:29]
	v_fma_f64 v[26:27], v[26:27], v[104:105], v[121:122]
	v_fma_f64 v[30:31], v[104:105], v[30:31], -v[106:107]
	v_mul_f64 v[104:105], v[24:25], v[114:115]
	v_add_co_u32 v114, vcc_lo, v94, v157
	v_add_co_ci_u32_e32 v115, vcc_lo, v95, v158, vcc_lo
	s_waitcnt vmcnt(13)
	v_mul_f64 v[157:158], v[137:138], v[132:133]
	v_mul_f64 v[137:138], v[88:89], v[137:138]
	v_mov_b32_e32 v124, v181
	v_add_co_u32 v120, vcc_lo, v94, v159
	v_add_co_ci_u32_e32 v121, vcc_lo, v95, v160, vcc_lo
	v_add_co_u32 v122, vcc_lo, v94, v161
	v_lshlrev_b64 v[106:107], 4, v[123:124]
	v_add_co_ci_u32_e32 v123, vcc_lo, v95, v162, vcc_lo
	v_add_co_u32 v159, vcc_lo, v94, v165
	v_add_co_ci_u32_e32 v160, vcc_lo, v95, v166, vcc_lo
	v_fma_f64 v[24:25], v[24:25], v[112:113], v[184:185]
	v_fma_f64 v[28:29], v[112:113], v[28:29], -v[104:105]
	v_add_co_u32 v112, vcc_lo, v94, v169
	v_add_co_ci_u32_e32 v113, vcc_lo, v95, v170, vcc_lo
	s_waitcnt vmcnt(12)
	v_mul_f64 v[161:162], v[141:142], v[116:117]
	v_mul_f64 v[104:105], v[86:87], v[141:142]
	v_add_co_u32 v141, vcc_lo, v94, v171
	v_add_co_ci_u32_e32 v142, vcc_lo, v95, v172, vcc_lo
	s_waitcnt vmcnt(11)
	v_mul_f64 v[165:166], v[145:146], v[155:156]
	v_mul_f64 v[145:146], v[84:85], v[145:146]
	s_waitcnt vmcnt(10) lgkmcnt(1)
	v_mul_f64 v[171:172], v[78:79], v[100:101]
	v_fma_f64 v[88:89], v[88:89], v[135:136], v[157:158]
	v_mul_f64 v[78:79], v[4:5], v[78:79]
	v_fma_f64 v[131:132], v[135:136], v[132:133], -v[137:138]
	s_waitcnt vmcnt(6)
	v_mul_f64 v[135:136], v[149:150], v[110:111]
	v_mul_f64 v[133:134], v[74:75], v[60:61]
	;; [unrolled: 1-line block ×3, first 2 shown]
	s_waitcnt lgkmcnt(0)
	v_mul_f64 v[149:150], v[70:71], v[96:97]
	v_mul_f64 v[74:75], v[8:9], v[74:75]
	;; [unrolled: 1-line block ×3, first 2 shown]
	s_waitcnt vmcnt(3)
	v_mul_f64 v[157:158], v[38:39], v[127:128]
	v_mul_f64 v[38:39], v[16:17], v[38:39]
	v_mov_b32_e32 v124, v126
	v_lshlrev_b64 v[177:178], 4, v[177:178]
	v_fma_f64 v[86:87], v[86:87], v[139:140], v[161:162]
	v_fma_f64 v[104:105], v[139:140], v[116:117], -v[104:105]
	v_mul_f64 v[139:140], v[66:67], v[129:130]
	v_mul_f64 v[66:67], v[18:19], v[66:67]
	v_add_co_u32 v169, vcc_lo, v94, v173
	v_fma_f64 v[84:85], v[84:85], v[143:144], v[165:166]
	v_fma_f64 v[143:144], v[143:144], v[155:156], -v[145:146]
	v_mul_f64 v[145:146], v[42:43], v[34:35]
	v_mul_f64 v[155:156], v[54:55], v[108:109]
	v_fma_f64 v[4:5], v[4:5], v[76:77], v[171:172]
	v_fma_f64 v[76:77], v[76:77], v[100:101], -v[78:79]
	s_waitcnt vmcnt(2)
	v_mul_f64 v[78:79], v[46:47], v[98:99]
	s_waitcnt vmcnt(1)
	v_mul_f64 v[100:101], v[50:51], v[62:63]
	v_fma_f64 v[22:23], v[22:23], v[147:148], v[135:136]
	s_waitcnt vmcnt(0)
	v_mul_f64 v[135:136], v[58:59], v[102:103]
	v_mul_f64 v[54:55], v[20:21], v[54:55]
	;; [unrolled: 1-line block ×6, first 2 shown]
	v_fma_f64 v[110:111], v[147:148], v[110:111], -v[137:138]
	v_fma_f64 v[8:9], v[8:9], v[72:73], v[133:134]
	v_fma_f64 v[60:61], v[72:73], v[60:61], -v[74:75]
	v_fma_f64 v[12:13], v[12:13], v[68:69], v[149:150]
	;; [unrolled: 2-line block ×5, first 2 shown]
	v_fma_f64 v[20:21], v[20:21], v[52:53], v[155:156]
	v_add_f64 v[38:39], v[88:89], -v[163:164]
	v_add_f64 v[66:67], v[104:105], -v[76:77]
	v_fma_f64 v[14:15], v[14:15], v[44:45], v[78:79]
	v_fma_f64 v[10:11], v[10:11], v[48:49], v[100:101]
	v_add_co_ci_u32_e32 v170, vcc_lo, v95, v174, vcc_lo
	v_fma_f64 v[6:7], v[6:7], v[56:57], v[135:136]
	v_fma_f64 v[52:53], v[52:53], v[108:109], -v[54:55]
	v_fma_f64 v[34:35], v[40:41], v[34:35], -v[42:43]
	;; [unrolled: 1-line block ×5, first 2 shown]
	v_add_f64 v[46:47], v[26:27], -v[84:85]
	v_add_f64 v[48:49], v[86:87], -v[4:5]
	v_add_f64 v[50:51], v[131:132], v[153:154]
	v_add_f64 v[54:55], v[104:105], v[76:77]
	;; [unrolled: 1-line block ×6, first 2 shown]
	v_add_f64 v[62:63], v[131:132], -v[153:154]
	v_add_f64 v[30:31], v[30:31], -v[143:144]
	;; [unrolled: 1-line block ×5, first 2 shown]
	v_add_f64 v[76:77], v[60:61], v[110:111]
	v_add_f64 v[78:79], v[68:69], v[151:152]
	v_add_f64 v[84:85], v[64:65], v[28:29]
	v_add_f64 v[8:9], v[8:9], v[22:23]
	v_add_f64 v[12:13], v[12:13], v[167:168]
	v_add_f64 v[18:19], v[18:19], v[24:25]
	v_add_f64 v[22:23], v[60:61], -v[110:111]
	v_add_f64 v[24:25], v[64:65], -v[28:29]
	;; [unrolled: 1-line block ×6, first 2 shown]
	v_add_f64 v[86:87], v[34:35], v[52:53]
	v_add_f64 v[88:89], v[42:43], v[40:41]
	;; [unrolled: 1-line block ×6, first 2 shown]
	v_add_f64 v[14:15], v[34:35], -v[52:53]
	v_add_f64 v[16:17], v[36:37], -v[44:45]
	;; [unrolled: 1-line block ×4, first 2 shown]
	v_add_f64 v[40:41], v[46:47], v[48:49]
	v_add_f64 v[42:43], v[50:51], v[54:55]
	;; [unrolled: 1-line block ×3, first 2 shown]
	v_add_f64 v[34:35], v[38:39], -v[46:47]
	v_add_f64 v[44:45], v[50:51], -v[56:57]
	;; [unrolled: 1-line block ×7, first 2 shown]
	v_add_f64 v[30:31], v[30:31], v[66:67]
	v_add_f64 v[48:49], v[48:49], -v[38:39]
	v_add_f64 v[50:51], v[54:55], -v[50:51]
	;; [unrolled: 1-line block ×6, first 2 shown]
	v_add_f64 v[72:73], v[72:73], v[74:75]
	v_add_f64 v[110:111], v[76:77], v[78:79]
	v_add_f64 v[126:127], v[76:77], -v[84:85]
	v_add_f64 v[131:132], v[84:85], -v[78:79]
	v_add_f64 v[133:134], v[8:9], v[12:13]
	v_add_f64 v[135:136], v[8:9], -v[18:19]
	v_add_f64 v[137:138], v[18:19], -v[12:13]
	;; [unrolled: 1-line block ×4, first 2 shown]
	v_add_f64 v[24:25], v[24:25], v[28:29]
	v_add_f64 v[74:75], v[74:75], -v[70:71]
	v_add_f64 v[76:77], v[78:79], -v[76:77]
	;; [unrolled: 1-line block ×6, first 2 shown]
	v_add_f64 v[64:65], v[64:65], v[68:69]
	v_add_f64 v[145:146], v[86:87], v[88:89]
	v_add_f64 v[151:152], v[2:3], v[6:7]
	v_add_f64 v[147:148], v[86:87], -v[98:99]
	v_add_f64 v[149:150], v[98:99], -v[88:89]
	;; [unrolled: 1-line block ×5, first 2 shown]
	v_mul_f64 v[6:7], v[36:37], s[20:21]
	v_add_f64 v[36:37], v[38:39], v[40:41]
	v_add_f64 v[38:39], v[56:57], v[42:43]
	;; [unrolled: 1-line block ×3, first 2 shown]
	v_add_f64 v[161:162], v[16:17], -v[20:21]
	v_add_f64 v[68:69], v[68:69], -v[60:61]
	v_mul_f64 v[40:41], v[44:45], s[0:1]
	v_mul_f64 v[42:43], v[46:47], s[16:17]
	;; [unrolled: 1-line block ×5, first 2 shown]
	v_add_f64 v[30:31], v[62:63], v[30:31]
	v_mul_f64 v[62:63], v[48:49], s[6:7]
	v_mul_f64 v[102:103], v[54:55], s[6:7]
	;; [unrolled: 1-line block ×3, first 2 shown]
	v_add_f64 v[70:71], v[70:71], v[72:73]
	v_add_f64 v[72:73], v[84:85], v[110:111]
	v_mul_f64 v[84:85], v[126:127], s[0:1]
	v_mul_f64 v[108:109], v[131:132], s[16:17]
	v_add_f64 v[18:19], v[18:19], v[133:134]
	v_mul_f64 v[110:111], v[135:136], s[0:1]
	v_mul_f64 v[131:132], v[137:138], s[16:17]
	v_add_f64 v[22:23], v[22:23], v[24:25]
	v_mul_f64 v[24:25], v[74:75], s[6:7]
	v_add_f64 v[60:61], v[60:61], v[64:65]
	v_add_f64 v[64:65], v[98:99], v[145:146]
	;; [unrolled: 1-line block ×3, first 2 shown]
	v_add_f64 v[153:154], v[2:3], -v[10:11]
	v_add_f64 v[157:158], v[14:15], -v[16:17]
	v_add_f64 v[16:17], v[16:17], v[20:21]
	v_add_f64 v[20:21], v[20:21], -v[14:15]
	v_add_f64 v[2:3], v[32:33], v[38:39]
	v_add_f64 v[0:1], v[0:1], v[26:27]
	v_mul_f64 v[133:134], v[143:144], s[20:21]
	v_mul_f64 v[137:138], v[12:13], s[6:7]
	;; [unrolled: 1-line block ×6, first 2 shown]
	v_fma_f64 v[163:164], v[34:35], s[18:19], v[6:7]
	v_fma_f64 v[32:33], v[44:45], s[0:1], v[42:43]
	;; [unrolled: 1-line block ×4, first 2 shown]
	v_fma_f64 v[34:35], v[34:35], s[24:25], -v[62:63]
	v_fma_f64 v[40:41], v[50:51], s[14:15], -v[40:41]
	;; [unrolled: 1-line block ×8, first 2 shown]
	v_fma_f64 v[54:55], v[58:59], s[18:19], v[66:67]
	v_add_f64 v[6:7], v[92:93], v[72:73]
	v_add_f64 v[4:5], v[82:83], v[18:19]
	v_fma_f64 v[24:25], v[58:59], s[24:25], -v[24:25]
	v_fma_f64 v[58:59], v[76:77], s[14:15], -v[84:85]
	;; [unrolled: 1-line block ×5, first 2 shown]
	v_add_f64 v[10:11], v[90:91], v[64:65]
	v_add_f64 v[8:9], v[80:81], v[145:146]
	v_mul_f64 v[98:99], v[147:148], s[0:1]
	v_mul_f64 v[149:150], v[153:154], s[0:1]
	v_add_f64 v[14:15], v[14:15], v[16:17]
	v_mul_f64 v[16:17], v[68:69], s[6:7]
	v_mul_f64 v[161:162], v[20:21], s[6:7]
	v_fma_f64 v[38:39], v[38:39], s[4:5], v[2:3]
	v_fma_f64 v[26:27], v[26:27], s[4:5], v[0:1]
	;; [unrolled: 1-line block ×3, first 2 shown]
	v_fma_f64 v[102:103], v[139:140], s[24:25], -v[137:138]
	v_fma_f64 v[12:13], v[12:13], s[6:7], -v[133:134]
	v_fma_f64 v[56:57], v[126:127], s[0:1], v[108:109]
	v_fma_f64 v[76:77], v[76:77], s[10:11], -v[108:109]
	v_fma_f64 v[104:105], v[28:29], s[18:19], v[78:79]
	v_fma_f64 v[90:91], v[147:148], s[0:1], v[143:144]
	;; [unrolled: 1-line block ×7, first 2 shown]
	global_store_dwordx4 v[114:115], v[0:3], off
	v_fma_f64 v[0:1], v[72:73], s[4:5], v[6:7]
	v_fma_f64 v[2:3], v[18:19], s[4:5], v[4:5]
	;; [unrolled: 1-line block ×6, first 2 shown]
	v_fma_f64 v[16:17], v[28:29], s[24:25], -v[16:17]
	v_fma_f64 v[28:29], v[86:87], s[14:15], -v[98:99]
	;; [unrolled: 1-line block ×8, first 2 shown]
	v_fma_f64 v[88:89], v[36:37], s[22:23], v[163:164]
	v_add_f64 v[32:33], v[32:33], v[38:39]
	v_add_f64 v[44:45], v[44:45], v[26:27]
	;; [unrolled: 1-line block ×4, first 2 shown]
	v_fma_f64 v[34:35], v[36:37], s[22:23], v[34:35]
	v_add_f64 v[40:41], v[40:41], v[38:39]
	v_fma_f64 v[36:37], v[36:37], s[22:23], v[48:49]
	v_fma_f64 v[72:73], v[70:71], s[22:23], v[54:55]
	;; [unrolled: 1-line block ×5, first 2 shown]
	v_add_f64 v[22:23], v[42:43], v[38:39]
	v_fma_f64 v[48:49], v[70:71], s[22:23], v[66:67]
	v_fma_f64 v[64:65], v[60:61], s[22:23], v[104:105]
	;; [unrolled: 1-line block ×3, first 2 shown]
	v_add_f64 v[50:51], v[76:77], v[0:1]
	v_add_f64 v[70:71], v[74:75], v[2:3]
	;; [unrolled: 1-line block ×4, first 2 shown]
	v_fma_f64 v[104:105], v[60:61], s[22:23], v[16:17]
	v_fma_f64 v[108:109], v[14:15], s[22:23], v[110:111]
	v_fma_f64 v[110:111], v[60:61], s[22:23], v[68:69]
	v_fma_f64 v[114:115], v[14:15], s[22:23], v[20:21]
	v_add_f64 v[56:57], v[56:57], v[0:1]
	v_add_f64 v[60:61], v[82:83], v[2:3]
	;; [unrolled: 1-line block ×9, first 2 shown]
	v_add_f64 v[20:21], v[26:27], -v[30:31]
	v_add_f64 v[30:31], v[32:33], -v[88:89]
	v_add_f64 v[28:29], v[100:101], v[44:45]
	v_add_f64 v[26:27], v[40:41], -v[34:35]
	v_add_f64 v[24:25], v[62:63], v[46:47]
	;; [unrolled: 2-line block ×3, first 2 shown]
	v_add_f64 v[14:15], v[34:35], v[40:41]
	v_add_f64 v[12:13], v[46:47], -v[62:63]
	v_add_f64 v[2:3], v[88:89], v[32:33]
	v_add_f64 v[0:1], v[44:45], -v[100:101]
	v_add_f64 v[42:43], v[50:51], -v[48:49]
	v_add_f64 v[46:47], v[48:49], v[50:51]
	v_add_f64 v[50:51], v[74:75], -v[64:65]
	v_add_f64 v[48:49], v[66:67], v[76:77]
	v_add_f64 v[34:35], v[72:73], v[56:57]
	v_add_f64 v[32:33], v[60:61], -v[92:93]
	v_add_f64 v[38:39], v[52:53], v[58:59]
	v_add_f64 v[36:37], v[68:69], -v[102:103]
	;; [unrolled: 2-line block ×3, first 2 shown]
	v_add_f64 v[54:55], v[58:59], -v[52:53]
	v_add_f64 v[52:53], v[102:103], v[68:69]
	v_add_f64 v[58:59], v[56:57], -v[72:73]
	v_add_f64 v[56:57], v[92:93], v[60:61]
	v_add_f64 v[62:63], v[64:65], v[74:75]
	v_add_f64 v[60:61], v[76:77], -v[66:67]
	v_add_f64 v[68:69], v[114:115], v[78:79]
	v_add_f64 v[74:75], v[110:111], v[84:85]
	v_add_f64 v[72:73], v[78:79], -v[114:115]
	v_add_f64 v[78:79], v[80:81], -v[104:105]
	v_add_f64 v[76:77], v[108:109], v[82:83]
	v_add_co_u32 v116, vcc_lo, v94, v177
	v_add_co_ci_u32_e32 v117, vcc_lo, v95, v178, vcc_lo
	v_add_co_u32 v96, vcc_lo, v94, v179
	v_mad_u64_u32 v[182:183], null, s2, v187, 0
	v_add_co_ci_u32_e32 v97, vcc_lo, v95, v180, vcc_lo
	v_add_co_u32 v106, vcc_lo, v94, v106
	v_add_co_ci_u32_e32 v107, vcc_lo, v95, v107, vcc_lo
	v_lshlrev_b64 v[129:130], 4, v[175:176]
	global_store_dwordx4 v[120:121], v[28:31], off
	global_store_dwordx4 v[122:123], v[24:27], off
	;; [unrolled: 1-line block ×8, first 2 shown]
	v_mad_u64_u32 v[0:1], null, s3, v186, v[124:125]
	v_add_nc_u32_e32 v13, 0x428, v119
	v_lshrrev_b32_e32 v10, 1, v188
	v_mov_b32_e32 v3, v183
	v_add_co_u32 v1, vcc_lo, v94, v129
	v_mad_u64_u32 v[8:9], null, s2, v13, 0
	v_mad_u32_u24 v19, 0x3f0, v10, v118
	v_add_co_ci_u32_e32 v2, vcc_lo, v95, v130, vcc_lo
	v_mov_b32_e32 v126, v0
	v_mad_u64_u32 v[10:11], null, s3, v187, v[3:4]
	v_mad_u64_u32 v[11:12], null, s2, v19, 0
	v_add_f64 v[70:71], v[84:85], -v[110:111]
	global_store_dwordx4 v[169:170], v[76:79], off
	global_store_dwordx4 v[1:2], v[72:75], off
	v_lshlrev_b64 v[1:2], 4, v[125:126]
	v_mov_b32_e32 v0, v9
	v_mov_b32_e32 v183, v10
	v_add_nc_u32_e32 v3, 0xa8, v19
	v_add_f64 v[66:67], v[104:105], v[80:81]
	v_add_f64 v[64:65], v[82:83], -v[108:109]
	v_mad_u64_u32 v[9:10], null, s3, v13, v[0:1]
	v_mov_b32_e32 v0, v12
	v_add_co_u32 v1, vcc_lo, v94, v1
	v_lshlrev_b64 v[12:13], 4, v[182:183]
	v_add_co_ci_u32_e32 v2, vcc_lo, v95, v2, vcc_lo
	v_mad_u64_u32 v[14:15], null, s3, v19, v[0:1]
	v_mad_u64_u32 v[15:16], null, s2, v3, 0
	v_add_co_u32 v17, vcc_lo, v94, v12
	global_store_dwordx4 v[1:2], v[68:71], off
	v_lshlrev_b64 v[1:2], 4, v[8:9]
	v_mov_b32_e32 v12, v14
	v_add_co_ci_u32_e32 v18, vcc_lo, v95, v13, vcc_lo
	v_mov_b32_e32 v0, v16
	v_add_nc_u32_e32 v14, 0x348, v19
	v_lshlrev_b64 v[8:9], 4, v[11:12]
	global_store_dwordx4 v[17:18], v[64:67], off
	v_add_nc_u32_e32 v12, 0x1f8, v19
	v_mad_u64_u32 v[10:11], null, s3, v3, v[0:1]
	v_add_co_u32 v0, vcc_lo, v94, v1
	v_add_co_ci_u32_e32 v1, vcc_lo, v95, v2, vcc_lo
	v_add_co_u32 v2, vcc_lo, v94, v8
	v_add_nc_u32_e32 v11, 0x150, v19
	v_add_co_ci_u32_e32 v3, vcc_lo, v95, v9, vcc_lo
	global_store_dwordx4 v[0:1], v[60:63], off
	v_mov_b32_e32 v16, v10
	v_mad_u64_u32 v[8:9], null, s2, v11, 0
	global_store_dwordx4 v[2:3], v[4:7], off
	v_add_nc_u32_e32 v7, 0x2a0, v19
	v_lshlrev_b64 v[0:1], 4, v[15:16]
	v_mad_u64_u32 v[2:3], null, s2, v12, 0
	v_add_nc_u32_e32 v15, 0x3f0, v19
	v_mad_u64_u32 v[5:6], null, s2, v7, 0
	v_mov_b32_e32 v4, v9
	v_add_co_u32 v0, vcc_lo, v94, v0
	v_add_co_ci_u32_e32 v1, vcc_lo, v95, v1, vcc_lo
	v_mad_u64_u32 v[9:10], null, s3, v11, v[4:5]
	v_mad_u64_u32 v[10:11], null, s2, v14, 0
	;; [unrolled: 1-line block ×4, first 2 shown]
	global_store_dwordx4 v[0:1], v[56:59], off
	v_mov_b32_e32 v4, v6
	v_mov_b32_e32 v0, v11
	v_lshlrev_b64 v[2:3], 4, v[2:3]
	v_mad_u64_u32 v[6:7], null, s3, v7, v[4:5]
	v_mad_u64_u32 v[0:1], null, s3, v14, v[0:1]
	v_lshlrev_b64 v[7:8], 4, v[8:9]
	v_mov_b32_e32 v1, v13
	v_lshlrev_b64 v[4:5], 4, v[5:6]
	v_add_co_u32 v7, vcc_lo, v94, v7
	v_mad_u64_u32 v[13:14], null, s3, v15, v[1:2]
	v_mov_b32_e32 v11, v0
	v_add_co_ci_u32_e32 v8, vcc_lo, v95, v8, vcc_lo
	v_add_co_u32 v0, vcc_lo, v94, v2
	v_add_co_ci_u32_e32 v1, vcc_lo, v95, v3, vcc_lo
	v_lshlrev_b64 v[2:3], 4, v[10:11]
	v_add_co_u32 v4, vcc_lo, v94, v4
	v_lshlrev_b64 v[9:10], 4, v[12:13]
	v_add_co_ci_u32_e32 v5, vcc_lo, v95, v5, vcc_lo
	v_add_co_u32 v2, vcc_lo, v94, v2
	v_add_co_ci_u32_e32 v3, vcc_lo, v95, v3, vcc_lo
	v_add_co_u32 v9, vcc_lo, v94, v9
	v_add_co_ci_u32_e32 v10, vcc_lo, v95, v10, vcc_lo
	global_store_dwordx4 v[7:8], v[52:55], off
	global_store_dwordx4 v[0:1], v[44:47], off
	;; [unrolled: 1-line block ×5, first 2 shown]
.LBB0_37:
	s_endpgm
	.section	.rodata,"a",@progbits
	.p2align	6, 0x0
	.amdhsa_kernel fft_rtc_back_len1176_factors_2_2_2_3_7_7_wgs_56_tpt_56_halfLds_dp_ip_CI_sbrr_dirReg
		.amdhsa_group_segment_fixed_size 0
		.amdhsa_private_segment_fixed_size 0
		.amdhsa_kernarg_size 88
		.amdhsa_user_sgpr_count 6
		.amdhsa_user_sgpr_private_segment_buffer 1
		.amdhsa_user_sgpr_dispatch_ptr 0
		.amdhsa_user_sgpr_queue_ptr 0
		.amdhsa_user_sgpr_kernarg_segment_ptr 1
		.amdhsa_user_sgpr_dispatch_id 0
		.amdhsa_user_sgpr_flat_scratch_init 0
		.amdhsa_user_sgpr_private_segment_size 0
		.amdhsa_wavefront_size32 1
		.amdhsa_uses_dynamic_stack 0
		.amdhsa_system_sgpr_private_segment_wavefront_offset 0
		.amdhsa_system_sgpr_workgroup_id_x 1
		.amdhsa_system_sgpr_workgroup_id_y 0
		.amdhsa_system_sgpr_workgroup_id_z 0
		.amdhsa_system_sgpr_workgroup_info 0
		.amdhsa_system_vgpr_workitem_id 0
		.amdhsa_next_free_vgpr 190
		.amdhsa_next_free_sgpr 27
		.amdhsa_reserve_vcc 1
		.amdhsa_reserve_flat_scratch 0
		.amdhsa_float_round_mode_32 0
		.amdhsa_float_round_mode_16_64 0
		.amdhsa_float_denorm_mode_32 3
		.amdhsa_float_denorm_mode_16_64 3
		.amdhsa_dx10_clamp 1
		.amdhsa_ieee_mode 1
		.amdhsa_fp16_overflow 0
		.amdhsa_workgroup_processor_mode 1
		.amdhsa_memory_ordered 1
		.amdhsa_forward_progress 0
		.amdhsa_shared_vgpr_count 0
		.amdhsa_exception_fp_ieee_invalid_op 0
		.amdhsa_exception_fp_denorm_src 0
		.amdhsa_exception_fp_ieee_div_zero 0
		.amdhsa_exception_fp_ieee_overflow 0
		.amdhsa_exception_fp_ieee_underflow 0
		.amdhsa_exception_fp_ieee_inexact 0
		.amdhsa_exception_int_div_zero 0
	.end_amdhsa_kernel
	.text
.Lfunc_end0:
	.size	fft_rtc_back_len1176_factors_2_2_2_3_7_7_wgs_56_tpt_56_halfLds_dp_ip_CI_sbrr_dirReg, .Lfunc_end0-fft_rtc_back_len1176_factors_2_2_2_3_7_7_wgs_56_tpt_56_halfLds_dp_ip_CI_sbrr_dirReg
                                        ; -- End function
	.section	.AMDGPU.csdata,"",@progbits
; Kernel info:
; codeLenInByte = 16704
; NumSgprs: 29
; NumVgprs: 190
; ScratchSize: 0
; MemoryBound: 1
; FloatMode: 240
; IeeeMode: 1
; LDSByteSize: 0 bytes/workgroup (compile time only)
; SGPRBlocks: 3
; VGPRBlocks: 23
; NumSGPRsForWavesPerEU: 29
; NumVGPRsForWavesPerEU: 190
; Occupancy: 5
; WaveLimiterHint : 1
; COMPUTE_PGM_RSRC2:SCRATCH_EN: 0
; COMPUTE_PGM_RSRC2:USER_SGPR: 6
; COMPUTE_PGM_RSRC2:TRAP_HANDLER: 0
; COMPUTE_PGM_RSRC2:TGID_X_EN: 1
; COMPUTE_PGM_RSRC2:TGID_Y_EN: 0
; COMPUTE_PGM_RSRC2:TGID_Z_EN: 0
; COMPUTE_PGM_RSRC2:TIDIG_COMP_CNT: 0
	.text
	.p2alignl 6, 3214868480
	.fill 48, 4, 3214868480
	.type	__hip_cuid_4fe2299533346e7b,@object ; @__hip_cuid_4fe2299533346e7b
	.section	.bss,"aw",@nobits
	.globl	__hip_cuid_4fe2299533346e7b
__hip_cuid_4fe2299533346e7b:
	.byte	0                               ; 0x0
	.size	__hip_cuid_4fe2299533346e7b, 1

	.ident	"AMD clang version 19.0.0git (https://github.com/RadeonOpenCompute/llvm-project roc-6.4.0 25133 c7fe45cf4b819c5991fe208aaa96edf142730f1d)"
	.section	".note.GNU-stack","",@progbits
	.addrsig
	.addrsig_sym __hip_cuid_4fe2299533346e7b
	.amdgpu_metadata
---
amdhsa.kernels:
  - .args:
      - .actual_access:  read_only
        .address_space:  global
        .offset:         0
        .size:           8
        .value_kind:     global_buffer
      - .offset:         8
        .size:           8
        .value_kind:     by_value
      - .actual_access:  read_only
        .address_space:  global
        .offset:         16
        .size:           8
        .value_kind:     global_buffer
      - .actual_access:  read_only
        .address_space:  global
        .offset:         24
        .size:           8
        .value_kind:     global_buffer
      - .offset:         32
        .size:           8
        .value_kind:     by_value
      - .actual_access:  read_only
        .address_space:  global
        .offset:         40
        .size:           8
        .value_kind:     global_buffer
      - .actual_access:  read_only
        .address_space:  global
        .offset:         48
        .size:           8
        .value_kind:     global_buffer
      - .offset:         56
        .size:           4
        .value_kind:     by_value
      - .actual_access:  read_only
        .address_space:  global
        .offset:         64
        .size:           8
        .value_kind:     global_buffer
      - .actual_access:  read_only
        .address_space:  global
        .offset:         72
        .size:           8
        .value_kind:     global_buffer
      - .address_space:  global
        .offset:         80
        .size:           8
        .value_kind:     global_buffer
    .group_segment_fixed_size: 0
    .kernarg_segment_align: 8
    .kernarg_segment_size: 88
    .language:       OpenCL C
    .language_version:
      - 2
      - 0
    .max_flat_workgroup_size: 56
    .name:           fft_rtc_back_len1176_factors_2_2_2_3_7_7_wgs_56_tpt_56_halfLds_dp_ip_CI_sbrr_dirReg
    .private_segment_fixed_size: 0
    .sgpr_count:     29
    .sgpr_spill_count: 0
    .symbol:         fft_rtc_back_len1176_factors_2_2_2_3_7_7_wgs_56_tpt_56_halfLds_dp_ip_CI_sbrr_dirReg.kd
    .uniform_work_group_size: 1
    .uses_dynamic_stack: false
    .vgpr_count:     190
    .vgpr_spill_count: 0
    .wavefront_size: 32
    .workgroup_processor_mode: 1
amdhsa.target:   amdgcn-amd-amdhsa--gfx1030
amdhsa.version:
  - 1
  - 2
...

	.end_amdgpu_metadata
